;; amdgpu-corpus repo=ROCm/rocFFT kind=compiled arch=gfx1201 opt=O3
	.text
	.amdgcn_target "amdgcn-amd-amdhsa--gfx1201"
	.amdhsa_code_object_version 6
	.protected	bluestein_single_fwd_len273_dim1_half_op_CI_CI ; -- Begin function bluestein_single_fwd_len273_dim1_half_op_CI_CI
	.globl	bluestein_single_fwd_len273_dim1_half_op_CI_CI
	.p2align	8
	.type	bluestein_single_fwd_len273_dim1_half_op_CI_CI,@function
bluestein_single_fwd_len273_dim1_half_op_CI_CI: ; @bluestein_single_fwd_len273_dim1_half_op_CI_CI
; %bb.0:
	s_load_b128 s[12:15], s[0:1], 0x28
	v_mul_u32_u24_e32 v1, 0x13b2, v0
	v_mov_b32_e32 v15, 0
	s_mov_b32 s2, exec_lo
	s_delay_alu instid0(VALU_DEP_2) | instskip(NEXT) | instid1(VALU_DEP_1)
	v_lshrrev_b32_e32 v4, 16, v1
	v_lshl_add_u32 v14, ttmp9, 2, v4
	s_wait_kmcnt 0x0
	s_delay_alu instid0(VALU_DEP_1)
	v_cmpx_gt_u64_e64 s[12:13], v[14:15]
	s_cbranch_execz .LBB0_15
; %bb.1:
	s_clause 0x1
	s_load_b128 s[4:7], s[0:1], 0x18
	s_load_b64 s[12:13], s[0:1], 0x0
	v_mul_lo_u16 v1, v4, 13
	s_delay_alu instid0(VALU_DEP_1) | instskip(NEXT) | instid1(VALU_DEP_1)
	v_sub_nc_u16 v8, v0, v1
	v_and_b32_e32 v78, 0xffff, v8
	s_wait_kmcnt 0x0
	s_load_b128 s[8:11], s[4:5], 0x0
	s_wait_kmcnt 0x0
	v_mad_co_u64_u32 v[0:1], null, s10, v14, 0
	v_mad_co_u64_u32 v[2:3], null, s8, v78, 0
	s_mul_u64 s[2:3], s[8:9], 21
	s_delay_alu instid0(VALU_DEP_1) | instskip(SKIP_1) | instid1(VALU_DEP_1)
	v_mad_co_u64_u32 v[5:6], null, s11, v14, v[1:2]
	s_load_b64 s[10:11], s[0:1], 0x38
	v_mov_b32_e32 v1, v5
	s_delay_alu instid0(VALU_DEP_3)
	v_mad_co_u64_u32 v[6:7], null, s9, v78, v[3:4]
	v_lshlrev_b32_e32 v45, 2, v78
	s_clause 0x7
	global_load_b32 v83, v45, s[12:13]
	global_load_b32 v81, v45, s[12:13] offset:84
	global_load_b32 v79, v45, s[12:13] offset:168
	global_load_b32 v76, v45, s[12:13] offset:252
	global_load_b32 v74, v45, s[12:13] offset:336
	global_load_b32 v73, v45, s[12:13] offset:420
	global_load_b32 v70, v45, s[12:13] offset:504
	global_load_b32 v69, v45, s[12:13] offset:588
	v_dual_mov_b32 v3, v6 :: v_dual_and_b32 v4, 3, v4
	v_lshlrev_b64_e32 v[0:1], 2, v[0:1]
	v_or_b32_e32 v58, 0xa0, v78
	s_delay_alu instid0(VALU_DEP_3) | instskip(NEXT) | instid1(VALU_DEP_4)
	v_lshlrev_b64_e32 v[5:6], 2, v[2:3]
	v_mul_u32_u24_e32 v43, 0x111, v4
	s_delay_alu instid0(VALU_DEP_4) | instskip(SKIP_2) | instid1(VALU_DEP_2)
	v_add_co_u32 v2, vcc_lo, s14, v0
	v_add_co_ci_u32_e32 v3, vcc_lo, s15, v1, vcc_lo
	s_lshl_b64 s[14:15], s[2:3], 2
	v_add_co_u32 v0, vcc_lo, v2, v5
	s_wait_alu 0xfffd
	s_delay_alu instid0(VALU_DEP_2)
	v_add_co_ci_u32_e32 v1, vcc_lo, v3, v6, vcc_lo
	v_lshlrev_b32_e32 v86, 2, v43
	v_add_co_u32 v12, s2, s12, v45
	global_load_b32 v7, v[0:1], off
	s_wait_alu 0xfffe
	v_add_co_u32 v0, vcc_lo, v0, s14
	s_wait_alu 0xfffd
	v_add_co_ci_u32_e32 v1, vcc_lo, s15, v1, vcc_lo
	s_clause 0x3
	global_load_b32 v67, v45, s[12:13] offset:672
	global_load_b32 v65, v45, s[12:13] offset:756
	;; [unrolled: 1-line block ×4, first 2 shown]
	global_load_b32 v9, v[0:1], off
	v_add_co_u32 v0, vcc_lo, v0, s14
	s_wait_alu 0xfffd
	v_add_co_ci_u32_e32 v1, vcc_lo, s15, v1, vcc_lo
	global_load_b32 v59, v45, s[12:13] offset:1008
	v_add_co_u32 v5, vcc_lo, v0, s14
	s_wait_alu 0xfffd
	v_add_co_ci_u32_e32 v6, vcc_lo, s15, v1, vcc_lo
	global_load_b32 v10, v[0:1], off
	v_add_co_u32 v0, vcc_lo, v5, s14
	s_wait_alu 0xfffd
	v_add_co_ci_u32_e32 v1, vcc_lo, s15, v6, vcc_lo
	s_clause 0x1
	global_load_b32 v11, v[5:6], off
	global_load_b32 v15, v[0:1], off
	v_add_co_u32 v0, vcc_lo, v0, s14
	s_wait_alu 0xfffd
	v_add_co_ci_u32_e32 v1, vcc_lo, s15, v1, vcc_lo
	v_add_nc_u32_e32 v57, v86, v45
	s_delay_alu instid0(VALU_DEP_3) | instskip(SKIP_1) | instid1(VALU_DEP_3)
	v_add_co_u32 v5, vcc_lo, v0, s14
	s_wait_alu 0xfffd
	v_add_co_ci_u32_e32 v6, vcc_lo, s15, v1, vcc_lo
	global_load_b32 v16, v[0:1], off
	v_add_co_u32 v0, vcc_lo, v5, s14
	s_wait_alu 0xfffd
	v_add_co_ci_u32_e32 v1, vcc_lo, s15, v6, vcc_lo
	global_load_b32 v17, v[5:6], off
	global_load_b32 v18, v[0:1], off
	v_add_co_u32 v0, vcc_lo, v0, s14
	s_wait_alu 0xfffd
	v_add_co_ci_u32_e32 v1, vcc_lo, s15, v1, vcc_lo
	v_add_co_ci_u32_e64 v13, null, s13, 0, s2
	s_delay_alu instid0(VALU_DEP_3) | instskip(SKIP_1) | instid1(VALU_DEP_3)
	v_add_co_u32 v5, vcc_lo, v0, s14
	s_wait_alu 0xfffd
	v_add_co_ci_u32_e32 v6, vcc_lo, s15, v1, vcc_lo
	global_load_b32 v19, v[0:1], off
	v_add_co_u32 v0, vcc_lo, v5, s14
	s_wait_alu 0xfffd
	v_add_co_ci_u32_e32 v1, vcc_lo, s15, v6, vcc_lo
	global_load_b32 v20, v[5:6], off
	;; [unrolled: 4-line block ×4, first 2 shown]
	global_load_b32 v6, v[0:1], off
	s_load_b128 s[4:7], s[6:7], 0x0
	v_cmp_gt_u16_e32 vcc_lo, 8, v8
	s_wait_loadcnt 0x19
	v_lshrrev_b32_e32 v85, 16, v83
	s_wait_loadcnt 0x18
	v_lshrrev_b32_e32 v84, 16, v81
	;; [unrolled: 2-line block ×9, first 2 shown]
	v_mul_f16_e32 v22, v85, v7
	s_wait_loadcnt 0x10
	v_lshrrev_b32_e32 v68, 16, v67
	s_wait_loadcnt 0xf
	v_lshrrev_b32_e32 v66, 16, v65
	;; [unrolled: 2-line block ×3, first 2 shown]
	v_mul_f16_e32 v23, v85, v4
	s_wait_loadcnt 0xc
	v_lshrrev_b32_e32 v24, 16, v9
	v_mul_f16_e32 v25, v84, v9
	v_fma_f16 v4, v83, v4, -v22
	v_lshrrev_b32_e32 v62, 16, v60
	v_fmac_f16_e32 v23, v83, v7
	v_mul_f16_e32 v7, v84, v24
	v_fma_f16 v24, v81, v24, -v25
	s_wait_loadcnt 0xb
	v_lshrrev_b32_e32 v61, 16, v59
	s_wait_loadcnt 0xa
	v_lshrrev_b32_e32 v22, 16, v10
	v_mul_f16_e32 v25, v82, v10
	v_pack_b32_f16 v4, v23, v4
	v_fmac_f16_e32 v7, v81, v9
	s_delay_alu instid0(VALU_DEP_4)
	v_mul_f16_e32 v9, v82, v22
	s_wait_loadcnt 0x9
	v_lshrrev_b32_e32 v23, 16, v11
	v_mul_f16_e32 v26, v80, v11
	v_fma_f16 v22, v79, v22, -v25
	v_pack_b32_f16 v7, v7, v24
	v_fmac_f16_e32 v9, v79, v10
	v_mul_f16_e32 v10, v80, v23
	s_wait_loadcnt 0x8
	v_lshrrev_b32_e32 v24, 16, v15
	v_fma_f16 v23, v76, v23, -v26
	v_mul_f16_e32 v25, v77, v15
	ds_store_2addr_b32 v57, v4, v7 offset1:21
	v_pack_b32_f16 v4, v9, v22
	v_fmac_f16_e32 v10, v76, v11
	v_mul_f16_e32 v7, v77, v24
	s_wait_loadcnt 0x7
	v_lshrrev_b32_e32 v9, 16, v16
	v_mul_f16_e32 v11, v75, v16
	v_fma_f16 v22, v74, v24, -v25
	v_pack_b32_f16 v10, v10, v23
	v_fmac_f16_e32 v7, v74, v15
	v_mul_f16_e32 v15, v75, v9
	v_fma_f16 v9, v73, v9, -v11
	s_wait_loadcnt 0x6
	v_lshrrev_b32_e32 v11, 16, v17
	v_mul_f16_e32 v23, v72, v17
	ds_store_2addr_b32 v57, v4, v10 offset0:42 offset1:63
	v_pack_b32_f16 v4, v7, v22
	v_fmac_f16_e32 v15, v73, v16
	v_mul_f16_e32 v7, v72, v11
	s_wait_loadcnt 0x5
	v_lshrrev_b32_e32 v10, 16, v18
	v_mul_f16_e32 v16, v71, v18
	v_fma_f16 v11, v70, v11, -v23
	v_pack_b32_f16 v9, v15, v9
	v_fmac_f16_e32 v7, v70, v17
	v_mul_f16_e32 v15, v71, v10
	v_fma_f16 v10, v69, v10, -v16
	s_wait_loadcnt 0x4
	v_lshrrev_b32_e32 v16, 16, v19
	v_mul_f16_e32 v17, v68, v19
	ds_store_2addr_b32 v57, v4, v9 offset0:84 offset1:105
	v_pack_b32_f16 v4, v7, v11
	v_fmac_f16_e32 v15, v69, v18
	s_wait_loadcnt 0x3
	v_lshrrev_b32_e32 v7, 16, v20
	v_mul_f16_e32 v9, v68, v16
	v_fma_f16 v11, v67, v16, -v17
	v_mul_f16_e32 v16, v66, v20
	v_pack_b32_f16 v10, v15, v10
	v_mul_f16_e32 v15, v66, v7
	s_wait_loadcnt 0x2
	v_lshrrev_b32_e32 v17, 16, v21
	s_wait_loadcnt 0x1
	v_lshrrev_b32_e32 v18, 16, v5
	v_fma_f16 v7, v65, v7, -v16
	v_mul_f16_e32 v16, v64, v21
	v_fmac_f16_e32 v15, v65, v20
	s_wait_loadcnt 0x0
	v_lshrrev_b32_e32 v20, 16, v6
	v_fmac_f16_e32 v9, v67, v19
	v_mul_f16_e32 v19, v64, v17
	v_fma_f16 v16, v63, v17, -v16
	v_mul_f16_e32 v17, v62, v5
	v_mul_f16_e32 v22, v62, v18
	v_mul_f16_e32 v23, v61, v6
	v_mul_f16_e32 v24, v61, v20
	v_fmac_f16_e32 v19, v63, v21
	v_fma_f16 v17, v60, v18, -v17
	v_fmac_f16_e32 v22, v60, v5
	v_fma_f16 v5, v59, v20, -v23
	v_fmac_f16_e32 v24, v59, v6
	v_pack_b32_f16 v6, v9, v11
	v_pack_b32_f16 v7, v15, v7
	;; [unrolled: 1-line block ×5, first 2 shown]
	ds_store_2addr_b32 v57, v4, v10 offset0:126 offset1:147
	ds_store_2addr_b32 v57, v6, v7 offset0:168 offset1:189
	;; [unrolled: 1-line block ×3, first 2 shown]
	ds_store_b32 v57, v5 offset:1008
	s_and_saveexec_b32 s3, vcc_lo
	s_cbranch_execz .LBB0_3
; %bb.2:
	v_mad_co_u64_u32 v[0:1], null, 0xfffffc44, s8, v[0:1]
	s_mul_i32 s2, s9, 0xfffffc44
	v_mad_co_u64_u32 v[4:5], null, s8, v58, 0
	s_wait_alu 0xfffe
	s_sub_co_i32 s2, s2, s8
	s_wait_alu 0xfffe
	s_delay_alu instid0(VALU_DEP_2) | instskip(NEXT) | instid1(VALU_DEP_3)
	v_add_nc_u32_e32 v1, s2, v1
	v_add_co_u32 v6, s2, v0, s14
	s_wait_alu 0xf1ff
	s_delay_alu instid0(VALU_DEP_2)
	v_add_co_ci_u32_e64 v7, s2, s15, v1, s2
	global_load_b32 v11, v[0:1], off
	v_add_co_u32 v0, s2, v6, s14
	s_wait_alu 0xf1ff
	v_add_co_ci_u32_e64 v1, s2, s15, v7, s2
	global_load_b32 v17, v[6:7], off
	v_add_co_u32 v6, s2, v0, s14
	s_wait_alu 0xf1ff
	v_add_co_ci_u32_e64 v7, s2, s15, v1, s2
	global_load_b32 v18, v[0:1], off
	v_add_co_u32 v0, s2, v6, s14
	v_mad_co_u64_u32 v[8:9], null, s9, v58, v[5:6]
	s_wait_alu 0xf1ff
	v_add_co_ci_u32_e64 v1, s2, s15, v7, s2
	s_delay_alu instid0(VALU_DEP_3)
	v_add_co_u32 v9, s2, v0, s14
	s_clause 0x8
	global_load_b32 v19, v[12:13], off offset:52
	global_load_b32 v20, v[12:13], off offset:136
	;; [unrolled: 1-line block ×9, first 2 shown]
	s_wait_alu 0xf1ff
	v_add_co_ci_u32_e64 v10, s2, s15, v1, s2
	v_mov_b32_e32 v5, v8
	v_add_co_u32 v15, s2, v9, s14
	s_wait_alu 0xf1ff
	s_delay_alu instid0(VALU_DEP_3) | instskip(NEXT) | instid1(VALU_DEP_3)
	v_add_co_ci_u32_e64 v16, s2, s15, v10, s2
	v_lshlrev_b64_e32 v[4:5], 2, v[4:5]
	s_clause 0x3
	global_load_b32 v28, v[12:13], off offset:808
	global_load_b32 v29, v[12:13], off offset:892
	;; [unrolled: 1-line block ×4, first 2 shown]
	global_load_b32 v8, v[6:7], off
	v_mad_co_u64_u32 v[6:7], null, 0xa8, s8, v[15:16]
	v_add_co_u32 v2, s2, v2, v4
	s_wait_alu 0xf1ff
	v_add_co_ci_u32_e64 v3, s2, v3, v5, s2
	global_load_b32 v32, v[0:1], off
	global_load_b32 v33, v[2:3], off
	v_mov_b32_e32 v0, v7
	global_load_b32 v9, v[9:10], off
	global_load_b32 v10, v[15:16], off
	v_mad_co_u64_u32 v[0:1], null, 0xa8, s9, v[0:1]
	s_delay_alu instid0(VALU_DEP_1) | instskip(SKIP_2) | instid1(VALU_DEP_2)
	v_mov_b32_e32 v7, v0
	v_add_co_u32 v0, s2, v6, s14
	s_wait_alu 0xf1ff
	v_add_co_ci_u32_e64 v1, s2, s15, v7, s2
	s_delay_alu instid0(VALU_DEP_2)
	v_add_co_u32 v2, s2, v0, s14
	global_load_b32 v6, v[6:7], off
	s_wait_alu 0xf1ff
	v_add_co_ci_u32_e64 v3, s2, s15, v1, s2
	global_load_b32 v7, v[0:1], off
	v_add_co_u32 v0, s2, v2, s14
	s_wait_alu 0xf1ff
	v_add_co_ci_u32_e64 v1, s2, s15, v3, s2
	s_delay_alu instid0(VALU_DEP_2) | instskip(SKIP_1) | instid1(VALU_DEP_2)
	v_add_co_u32 v4, s2, v0, s14
	s_wait_alu 0xf1ff
	v_add_co_ci_u32_e64 v5, s2, s15, v1, s2
	global_load_b32 v2, v[2:3], off
	global_load_b32 v0, v[0:1], off
	;; [unrolled: 1-line block ×3, first 2 shown]
	s_wait_loadcnt 0x19
	v_lshrrev_b32_e32 v38, 16, v11
	s_wait_loadcnt 0x18
	v_lshrrev_b32_e32 v44, 16, v17
	;; [unrolled: 2-line block ×7, first 2 shown]
	v_mul_f16_e32 v42, v3, v11
	v_mul_f16_e32 v3, v3, v38
	;; [unrolled: 1-line block ×4, first 2 shown]
	s_wait_loadcnt 0x11
	v_lshrrev_b32_e32 v34, 16, v24
	v_fma_f16 v38, v19, v38, -v42
	v_fmac_f16_e32 v3, v19, v11
	v_lshrrev_b32_e32 v11, 16, v18
	v_fma_f16 v19, v20, v44, -v47
	v_mul_f16_e32 v42, v5, v18
	v_fmac_f16_e32 v4, v20, v17
	v_pack_b32_f16 v3, v3, v38
	v_mul_f16_e32 v5, v5, v11
	s_wait_loadcnt 0x9
	v_lshrrev_b32_e32 v17, 16, v8
	v_mul_f16_e32 v20, v15, v8
	v_fma_f16 v11, v21, v11, -v42
	v_pack_b32_f16 v4, v4, v19
	v_fmac_f16_e32 v5, v21, v18
	v_mul_f16_e32 v15, v15, v17
	v_fma_f16 v17, v22, v17, -v20
	v_lshrrev_b32_e32 v35, 16, v25
	ds_store_2addr_b32 v57, v3, v4 offset0:13 offset1:34
	s_wait_loadcnt 0x8
	v_lshrrev_b32_e32 v18, 16, v32
	v_mul_f16_e32 v19, v16, v32
	v_pack_b32_f16 v3, v5, v11
	v_fmac_f16_e32 v15, v22, v8
	s_wait_loadcnt 0x6
	v_lshrrev_b32_e32 v8, 16, v9
	v_mul_f16_e32 v4, v16, v18
	v_mul_f16_e32 v11, v34, v9
	v_lshrrev_b32_e32 v36, 16, v26
	v_lshrrev_b32_e32 v20, 16, v33
	v_fma_f16 v5, v23, v18, -v19
	v_pack_b32_f16 v15, v15, v17
	v_fmac_f16_e32 v4, v23, v32
	v_mul_f16_e32 v17, v34, v8
	v_fma_f16 v8, v24, v8, -v11
	s_wait_loadcnt 0x5
	v_lshrrev_b32_e32 v11, 16, v10
	v_lshrrev_b32_e32 v37, 16, v27
	v_mul_f16_e32 v21, v36, v33
	v_mul_f16_e32 v16, v36, v20
	;; [unrolled: 1-line block ×3, first 2 shown]
	ds_store_2addr_b32 v57, v3, v15 offset0:55 offset1:76
	v_pack_b32_f16 v3, v4, v5
	v_mul_f16_e32 v4, v35, v11
	v_lshrrev_b32_e32 v39, 16, v28
	v_fma_f16 v18, v26, v20, -v21
	v_fmac_f16_e32 v16, v26, v33
	v_fmac_f16_e32 v17, v24, v9
	v_fma_f16 v5, v25, v11, -v19
	s_wait_loadcnt 0x4
	v_lshrrev_b32_e32 v11, 16, v6
	v_fmac_f16_e32 v4, v25, v10
	v_mul_f16_e32 v10, v37, v6
	s_wait_loadcnt 0x3
	v_lshrrev_b32_e32 v15, 16, v7
	v_lshrrev_b32_e32 v40, 16, v29
	v_pack_b32_f16 v9, v16, v18
	v_pack_b32_f16 v8, v17, v8
	v_mul_f16_e32 v16, v37, v11
	v_mul_f16_e32 v17, v39, v7
	v_pack_b32_f16 v4, v4, v5
	v_fma_f16 v5, v27, v11, -v10
	v_mul_f16_e32 v10, v39, v15
	v_lshrrev_b32_e32 v41, 16, v30
	v_fmac_f16_e32 v16, v27, v6
	v_fma_f16 v6, v28, v15, -v17
	s_wait_loadcnt 0x2
	v_lshrrev_b32_e32 v11, 16, v2
	v_mul_f16_e32 v15, v40, v2
	v_fmac_f16_e32 v10, v28, v7
	s_wait_loadcnt 0x1
	v_lshrrev_b32_e32 v7, 16, v0
	v_lshrrev_b32_e32 v46, 16, v31
	s_wait_loadcnt 0x0
	v_lshrrev_b32_e32 v17, 16, v1
	v_mul_f16_e32 v18, v40, v11
	v_fma_f16 v11, v29, v11, -v15
	v_mul_f16_e32 v15, v41, v0
	v_mul_f16_e32 v19, v41, v7
	;; [unrolled: 1-line block ×4, first 2 shown]
	v_fmac_f16_e32 v18, v29, v2
	v_fma_f16 v2, v30, v7, -v15
	v_fmac_f16_e32 v19, v30, v0
	v_fmac_f16_e32 v20, v31, v1
	v_fma_f16 v0, v31, v17, -v21
	v_pack_b32_f16 v1, v16, v5
	v_pack_b32_f16 v5, v10, v6
	;; [unrolled: 1-line block ×5, first 2 shown]
	ds_store_2addr_b32 v57, v3, v8 offset0:97 offset1:118
	ds_store_2addr_b32 v57, v4, v9 offset0:139 offset1:160
	ds_store_2addr_b32 v57, v1, v5 offset0:181 offset1:202
	ds_store_2addr_b32 v57, v6, v2 offset0:223 offset1:244
	ds_store_b32 v57, v0 offset:1060
.LBB0_3:
	s_wait_alu 0xfffe
	s_or_b32 exec_lo, exec_lo, s3
	global_wb scope:SCOPE_SE
	s_wait_dscnt 0x0
	s_wait_kmcnt 0x0
	s_barrier_signal -1
	s_barrier_wait -1
	global_inv scope:SCOPE_SE
	ds_load_2addr_b32 v[19:20], v57 offset1:21
	ds_load_2addr_b32 v[27:28], v57 offset0:42 offset1:63
	ds_load_2addr_b32 v[23:24], v57 offset0:84 offset1:105
	;; [unrolled: 1-line block ×5, first 2 shown]
	ds_load_b32 v88, v57 offset:1008
	s_load_b64 s[0:1], s[0:1], 0x8
	v_mov_b32_e32 v6, 0
                                        ; implicit-def: $vgpr29
                                        ; implicit-def: $vgpr1
                                        ; implicit-def: $vgpr3
                                        ; implicit-def: $vgpr5
                                        ; implicit-def: $vgpr9
                                        ; implicit-def: $vgpr11
	s_and_saveexec_b32 s2, vcc_lo
	s_cbranch_execz .LBB0_5
; %bb.4:
	ds_load_2addr_b32 v[6:7], v57 offset0:13 offset1:34
	ds_load_2addr_b32 v[10:11], v57 offset0:55 offset1:76
	ds_load_2addr_b32 v[8:9], v57 offset0:97 offset1:118
	ds_load_2addr_b32 v[4:5], v57 offset0:139 offset1:160
	ds_load_2addr_b32 v[2:3], v57 offset0:181 offset1:202
	ds_load_2addr_b32 v[0:1], v57 offset0:223 offset1:244
	ds_load_b32 v29, v57 offset:1060
.LBB0_5:
	s_wait_alu 0xfffe
	s_or_b32 exec_lo, exec_lo, s2
	s_wait_dscnt 0x0
	v_pk_add_f16 v31, v7, v29 neg_lo:[0,1] neg_hi:[0,1]
	v_pk_add_f16 v33, v10, v1 neg_lo:[0,1] neg_hi:[0,1]
	v_pk_add_f16 v30, v29, v7
	v_pk_add_f16 v32, v1, v10
	v_pk_add_f16 v34, v11, v0 neg_lo:[0,1] neg_hi:[0,1]
	v_lshrrev_b32_e32 v106, 16, v31
	v_lshrrev_b32_e32 v109, 16, v33
	v_pk_mul_f16 v87, 0x3b15388b, v30
	v_pk_add_f16 v15, v19, v20
	v_lshrrev_b32_e32 v92, 16, v34
	v_mul_f16_e32 v41, 0xb770, v106
	v_mul_f16_e32 v56, 0xbb7b, v106
	;; [unrolled: 1-line block ×5, first 2 shown]
	v_fmamk_f16 v16, v30, 0x3b15, v41
	v_fmamk_f16 v36, v30, 0xb5ac, v56
	;; [unrolled: 1-line block ×3, first 2 shown]
	v_mul_f16_e32 v94, 0x394e, v109
	v_fmamk_f16 v40, v32, 0xbbc4, v49
	v_add_f16_e32 v16, v16, v6
	v_add_f16_e32 v39, v36, v6
	v_fmamk_f16 v36, v32, 0x388b, v44
	v_add_f16_e32 v37, v35, v6
	v_pk_add_f16 v35, v0, v11
	v_mul_f16_e32 v46, 0xbbf1, v92
	v_fmamk_f16 v47, v32, 0xb9fd, v94
	v_add_f16_e32 v16, v36, v16
	v_pk_add_f16 v36, v8, v3 neg_lo:[0,1] neg_hi:[0,1]
	v_add_f16_e32 v40, v40, v37
	v_fmamk_f16 v37, v35, 0x2fb7, v46
	v_add_f16_e32 v51, v47, v39
	v_mul_f16_e32 v55, 0x3b7b, v92
	v_mul_f16_e32 v97, 0x3770, v92
	v_lshrrev_b32_e32 v93, 16, v36
	v_pk_add_f16 v39, v9, v2 neg_lo:[0,1] neg_hi:[0,1]
	v_add_f16_e32 v16, v37, v16
	v_fmamk_f16 v52, v35, 0xb5ac, v55
	v_fmamk_f16 v53, v35, 0x3b15, v97
	v_pk_add_f16 v37, v3, v8
	v_mul_f16_e32 v47, 0xbb7b, v93
	v_lshrrev_b32_e32 v104, 16, v39
	v_mul_f16_e32 v96, 0x3770, v93
	v_pk_fma_f16 v38, 0xba95b770, v31, v87 op_sel:[0,0,1] op_sel_hi:[1,1,0]
	v_pk_mul_f16 v89, 0x388bb5ac, v32
	v_add_f16_e32 v54, v52, v40
	v_add_f16_e32 v53, v53, v51
	v_fmamk_f16 v52, v37, 0xb5ac, v47
	v_mul_f16_e32 v101, 0xbbf1, v93
	v_pk_add_f16 v40, v2, v9
	v_mul_f16_e32 v51, 0xb94e, v104
	v_fmamk_f16 v95, v37, 0x3b15, v96
	v_pk_fma_f16 v42, 0xbb7bba95, v33, v89 op_sel:[0,0,1] op_sel_hi:[1,1,0]
	v_pk_mul_f16 v90, 0x2fb7bbc4, v35
	v_add_f16_e32 v16, v52, v16
	v_fmamk_f16 v98, v37, 0x2fb7, v101
	v_fmamk_f16 v99, v40, 0xb9fd, v51
	v_add_f16_e32 v54, v95, v54
	v_mul_f16_e32 v95, 0xba95, v104
	v_lshrrev_b32_e32 v100, 16, v38
	v_pk_add_f16 v15, v15, v27
	v_pk_fma_f16 v50, 0xb3a8bbf1, v34, v90 op_sel:[0,0,1] op_sel_hi:[1,1,0]
	v_pk_mul_f16 v91, 0xb5acb9fd, v37
	v_add_f16_e32 v102, v98, v53
	v_add_f16_e32 v16, v99, v16
	v_fmamk_f16 v53, v40, 0x388b, v95
	v_add_f16_e32 v99, v100, v6
	v_lshrrev_b32_e32 v100, 16, v42
	v_pk_add_f16 v15, v15, v28
	v_pk_fma_f16 v52, 0x394ebb7b, v36, v91 op_sel:[0,0,1] op_sel_hi:[1,1,0]
	v_pk_mul_f16 v105, 0xb9fd2fb7, v40
	v_add_f16_e32 v120, v53, v54
	v_add_f16_e32 v99, v100, v99
	v_lshrrev_b32_e32 v100, 16, v50
	v_pk_add_f16 v53, v5, v4
	v_pk_add_f16 v15, v15, v23
	v_pk_fma_f16 v98, 0x3bf1b94e, v39, v105 op_sel:[0,0,1] op_sel_hi:[1,1,0]
	v_pk_add_f16 v54, v4, v5 neg_lo:[0,1] neg_hi:[0,1]
	v_mul_f16_e32 v103, 0x33a8, v104
	v_add_f16_e32 v99, v100, v99
	v_lshrrev_b32_e32 v110, 16, v52
	v_pk_add_f16 v15, v15, v24
	v_pk_mul_f16 v108, 0xbbc43b15, v53
	v_pk_add_f16 v119, v20, v88 neg_lo:[0,1] neg_hi:[0,1]
	v_fmamk_f16 v111, v40, 0xbbc4, v103
	v_add_f16_e32 v110, v110, v99
	v_lshrrev_b32_e32 v112, 16, v98
	v_pk_add_f16 v15, v15, v21
	v_pk_fma_f16 v99, 0x3770b3a8, v54, v108 op_sel:[0,0,1] op_sel_hi:[1,1,0]
	v_lshrrev_b32_e32 v122, 16, v119
	v_pk_add_f16 v115, v27, v18 neg_lo:[0,1] neg_hi:[0,1]
	v_add_f16_e32 v121, v111, v102
	v_add_f16_e32 v110, v112, v110
	v_pk_add_f16 v15, v15, v22
	v_lshrrev_b32_e32 v111, 16, v99
	v_pk_add_f16 v123, v88, v20
	v_mul_f16_e32 v124, 0xb94e, v122
	v_lshrrev_b32_e32 v126, 16, v115
	v_pk_add_f16 v112, v15, v25
	v_add_f16_e32 v15, v111, v110
	v_lshrrev_b32_e32 v110, 16, v123
	v_fma_f16 v111, v123, 0xb9fd, -v124
	v_pk_add_f16 v27, v18, v27
	v_mul_f16_e32 v113, 0x3bf1, v126
	v_pk_add_f16 v117, v28, v17 neg_lo:[0,1] neg_hi:[0,1]
	v_mul_f16_e64 v128, 0xb94e, v119
	v_pk_add_f16 v127, v112, v26
	v_add_f16_e32 v114, v19, v111
	v_pk_add_f16 v111, v17, v28
	v_pk_add_f16 v28, v26, v23
	v_pk_add_f16 v118, v23, v26 neg_lo:[0,1] neg_hi:[0,1]
	v_fma_f16 v116, v27, 0x2fb7, -v113
	v_lshrrev_b32_e32 v129, 16, v117
	v_lshrrev_b32_e32 v26, 16, v19
	v_fma_f16 v130, 0xb9fd, v110, v128
	v_lshrrev_b32_e32 v112, 16, v27
	v_mul_f16_e64 v131, 0x3bf1, v115
	v_mul_f16_e64 v132, 0xba95, v129
	v_add_f16_e32 v116, v116, v114
	v_add_f16_e64 v130, v26, v130
	v_lshrrev_b32_e32 v133, 16, v118
	v_fma_f16 v134, 0x2fb7, v112, v131
	v_lshrrev_b32_e32 v114, 16, v111
	v_mul_f16_e64 v136, 0xba95, v117
	v_lshrrev_b32_e32 v107, 16, v54
	v_pk_add_f16 v23, v25, v24
	v_fma_f16 v135, v111, 0x388b, -v132
	v_mul_f16_e64 v137, 0x33a8, v133
	v_pk_add_f16 v138, v24, v25 neg_lo:[0,1] neg_hi:[0,1]
	v_add_f16_e64 v25, v134, v130
	v_fma_f16 v130, 0x388b, v114, v136
	v_mul_f16_e32 v100, 0xb3a8, v107
	v_add_f16_e64 v116, v135, v116
	v_fma_f16 v134, v28, 0xbbc4, -v137
	v_lshrrev_b32_e32 v24, 16, v28
	v_mul_f16_e64 v135, 0x33a8, v118
	v_lshrrev_b32_e32 v139, 16, v138
	v_add_f16_e64 v130, v130, v25
	v_pk_add_f16 v25, v21, v22 neg_lo:[0,1] neg_hi:[0,1]
	v_fmamk_f16 v102, v53, 0xbbc4, v100
	v_add_f16_e64 v134, v134, v116
	v_fma_f16 v140, 0xbbc4, v24, v135
	v_mul_f16_e64 v141, 0x3770, v139
	v_lshrrev_b32_e32 v116, 16, v23
	v_mul_f16_e64 v142, 0x3770, v138
	v_lshrrev_b32_e32 v143, 16, v25
	v_pk_add_f16 v21, v22, v21
	v_add_f16_e32 v16, v102, v16
	v_mul_f16_e32 v102, 0xb94e, v107
	v_add_f16_e64 v130, v140, v130
	v_fma_f16 v140, v23, 0x3b15, -v141
	v_fma_f16 v144, 0x3b15, v116, v142
	v_mul_f16_e64 v145, 0xbb7b, v143
	v_lshrrev_b32_e32 v22, 16, v21
	v_mul_f16_e64 v146, 0xbb7b, v25
	v_mul_f16_e32 v20, 0x3a95, v107
	v_fmamk_f16 v125, v53, 0xb9fd, v102
	v_pk_add_f16 v17, v127, v17
	v_add_f16_e64 v127, v140, v134
	v_add_f16_e64 v130, v144, v130
	v_fma_f16 v134, v21, 0xb5ac, -v145
	v_fma_f16 v140, 0xb5ac, v22, v146
	v_mul_lo_u16 v147, v78, 13
	v_fma_f16 v144, 0x388b, v53, v20
	v_pk_add_f16 v148, v17, v18
	v_add_f16_e64 v127, v134, v127
	v_add_f16_e64 v130, v140, v130
	v_add_f16_e32 v18, v125, v120
	v_and_b32_e32 v120, 0xffff, v147
	v_add_f16_e64 v17, v144, v121
	v_pk_add_f16 v121, v148, v88
	v_pack_b32_f16 v125, v127, v130
	v_mul_f16_e32 v127, 0xb770, v122
	v_lshl_add_u32 v88, v120, 2, v86
	global_wb scope:SCOPE_SE
	s_wait_kmcnt 0x0
	s_barrier_signal -1
	s_barrier_wait -1
	v_fma_f16 v120, v123, 0x3b15, -v127
	global_inv scope:SCOPE_SE
	v_pk_mul_f16 v130, 0x3b15388b, v123
	ds_store_2addr_b32 v88, v121, v125 offset1:5
	v_fmac_f16_e32 v127, 0x3b15, v123
	v_mul_f16_e32 v121, 0xbbf1, v122
	v_mul_f16_e32 v122, 0xbb7b, v122
	v_pk_fma_f16 v134, 0xba95b770, v119, v130 op_sel:[0,0,1] op_sel_hi:[1,1,0] neg_lo:[0,1,0] neg_hi:[0,1,0]
	v_pk_fma_f16 v125, 0xba95b770, v119, v130 op_sel:[0,0,1] op_sel_hi:[1,1,0]
	v_add_f16_e64 v130, v19, v127
	v_fma_f16 v127, v123, 0x2fb7, -v121
	v_fma_f16 v144, v123, 0xb5ac, -v122
	v_fmac_f16_e32 v121, 0x2fb7, v123
	v_bfi_b32 v140, 0xffff, v125, v134
	v_fmac_f16_e32 v122, 0xb5ac, v123
	v_fmac_f16_e32 v124, 0xb9fd, v123
	v_pk_mul_f16 v123, 0xbbc4, v123 op_sel_hi:[0,1]
	v_pk_add_f16 v147, v19, v125 op_sel:[1,0] op_sel_hi:[0,1]
	v_add_f16_e32 v125, v19, v127
	v_add_f16_e64 v127, v19, v144
	v_pk_mul_f16 v144, 0x388bb5ac, v27
	v_mul_f16_e64 v149, 0xba95, v119
	v_add_f16_e64 v148, v19, v121
	v_pk_fma_f16 v121, 0xb3a8, v119, v123 op_sel:[0,0,1] op_sel_hi:[0,1,0] neg_lo:[0,1,0] neg_hi:[0,1,0]
	v_pk_fma_f16 v123, 0xb3a8, v119, v123 op_sel:[0,0,1] op_sel_hi:[0,1,0]
	v_mul_f16_e64 v150, 0xba95, v126
	v_pk_fma_f16 v151, 0xbb7bba95, v115, v144 op_sel:[0,0,1] op_sel_hi:[1,1,0] neg_lo:[0,1,0] neg_hi:[0,1,0]
	v_pk_fma_f16 v144, 0xbb7bba95, v115, v144 op_sel:[0,0,1] op_sel_hi:[1,1,0]
	v_fma_f16 v152, 0x388b, v110, v149
	v_mul_f16_e64 v153, 0xbb7b, v115
	v_add_f16_e32 v120, v19, v120
	v_pk_add_f16 v140, v19, v140 op_sel:[1,0] op_sel_hi:[0,1]
	v_add_f16_e32 v122, v19, v122
	v_add_f16_e32 v124, v19, v124
	v_pk_add_f16 v121, v19, v121 op_sel:[1,0] op_sel_hi:[0,1]
	v_pk_add_f16 v19, v19, v123 op_sel:[1,0] op_sel_hi:[0,1]
	v_fma_f16 v123, v27, 0x388b, -v150
	v_bfi_b32 v154, 0xffff, v144, v151
	v_add_f16_e64 v152, v26, v152
	v_fma_f16 v155, 0xb5ac, v112, v153
	v_mul_f16_e64 v157, 0xb3a8, v126
	v_mul_f16_e64 v156, 0xbbf1, v119
	v_add_f16_e32 v120, v123, v120
	v_pk_add_f16 v123, v154, v140
	v_add_f16_e64 v140, v155, v152
	v_fma_f16 v155, v27, 0xbbc4, -v157
	v_mul_f16_e32 v126, 0x394e, v126
	v_mul_f16_e32 v119, 0xbb7b, v119
	v_fma_f16 v152, 0x2fb7, v110, v156
	v_mul_f16_e64 v154, 0xb3a8, v115
	v_add_f16_e64 v125, v155, v125
	v_fma_f16 v155, v27, 0xb9fd, -v126
	v_fma_f16 v159, 0xb5ac, v110, v119
	v_mul_f16_e64 v160, 0x394e, v115
	v_add_f16_e64 v152, v26, v152
	v_fma_f16 v158, 0xbbc4, v112, v154
	v_add_f16_e64 v127, v155, v127
	v_add_f16_e64 v155, v26, v159
	v_fma_f16 v159, 0xb9fd, v112, v160
	v_mul_f16_e64 v161, 0xbbf1, v129
	v_add_f16_e64 v152, v158, v152
	v_pk_mul_f16 v158, 0x2fb7bbc4, v111
	v_mul_f16_e64 v167, 0x3b7b, v117
	v_add_f16_e64 v155, v159, v155
	v_mul_f16_e64 v159, 0x3b7b, v129
	v_fma_f16 v164, v111, 0x2fb7, -v161
	v_pk_fma_f16 v162, 0xb3a8bbf1, v117, v158 op_sel:[0,0,1] op_sel_hi:[1,1,0] neg_lo:[0,1,0] neg_hi:[0,1,0]
	v_pk_fma_f16 v158, 0xb3a8bbf1, v117, v158 op_sel:[0,0,1] op_sel_hi:[1,1,0]
	v_mul_f16_e64 v163, 0xb3a8, v117
	v_fma_f16 v168, v111, 0xb5ac, -v159
	v_add_f16_e64 v120, v164, v120
	v_fma_f16 v164, 0xb5ac, v114, v167
	v_mul_f16_e64 v129, 0x3770, v129
	v_bfi_b32 v165, 0xffff, v158, v162
	v_fma_f16 v166, 0xbbc4, v114, v163
	v_add_f16_e64 v125, v168, v125
	v_add_f16_e64 v152, v164, v152
	v_mul_f16_e64 v164, 0xbb7b, v133
	v_fma_f16 v168, v111, 0x3b15, -v129
	v_pk_add_f16 v123, v165, v123
	v_add_f16_e64 v140, v166, v140
	v_mul_f16_e64 v165, 0x3770, v117
	v_pk_mul_f16 v166, 0xb5acb9fd, v28
	v_fma_f16 v171, v28, 0xb5ac, -v164
	v_add_f16_e64 v127, v168, v127
	v_mul_f16_e64 v168, 0x394e, v118
	v_fma_f16 v169, 0x3b15, v114, v165
	v_pk_fma_f16 v170, 0x394ebb7b, v118, v166 op_sel:[0,0,1] op_sel_hi:[1,1,0] neg_lo:[0,1,0] neg_hi:[0,1,0]
	v_pk_fma_f16 v166, 0x394ebb7b, v118, v166 op_sel:[0,0,1] op_sel_hi:[1,1,0]
	v_add_f16_e64 v120, v171, v120
	v_mul_f16_e64 v171, 0x3770, v133
	v_fma_f16 v172, 0xb9fd, v24, v168
	v_mul_f16_e64 v173, 0x3770, v118
	v_mul_f16_e64 v133, 0xbbf1, v133
	v_add_f16_e64 v155, v169, v155
	v_bfi_b32 v169, 0xffff, v166, v170
	v_add_f16_e64 v140, v172, v140
	v_fma_f16 v172, 0x3b15, v24, v173
	v_mul_f16_e64 v174, 0xbbf1, v118
	v_fma_f16 v175, v28, 0x2fb7, -v133
	v_pk_add_f16 v123, v169, v123
	v_fma_f16 v169, v28, 0x3b15, -v171
	v_add_f16_e64 v152, v172, v152
	v_fma_f16 v172, 0x2fb7, v24, v174
	v_add_f16_e64 v127, v175, v127
	v_mul_f16_e64 v175, 0xb94e, v139
	v_add_f16_e64 v125, v169, v125
	v_pk_mul_f16 v169, 0xb9fd2fb7, v23
	v_add_f16_e64 v155, v172, v155
	v_mul_f16_e64 v172, 0x3bf1, v138
	v_fma_f16 v177, v23, 0xb9fd, -v175
	v_mul_f16_e64 v178, 0xba95, v139
	v_pk_fma_f16 v176, 0x3bf1b94e, v138, v169 op_sel:[0,0,1] op_sel_hi:[1,1,0] neg_lo:[0,1,0] neg_hi:[0,1,0]
	v_pk_fma_f16 v169, 0x3bf1b94e, v138, v169 op_sel:[0,0,1] op_sel_hi:[1,1,0]
	v_fma_f16 v181, 0x2fb7, v116, v172
	v_add_f16_e64 v120, v177, v120
	v_fma_f16 v177, v23, 0x388b, -v178
	v_mul_f16_e64 v139, 0x33a8, v139
	v_bfi_b32 v179, 0xffff, v169, v176
	v_mul_f16_e64 v180, 0xba95, v138
	v_add_f16_e64 v140, v181, v140
	v_add_f16_e64 v125, v177, v125
	v_pk_mul_f16 v177, 0xbbc43b15, v21
	v_fma_f16 v181, v23, 0xbbc4, -v139
	v_mul_f16_e64 v182, 0xb3a8, v143
	v_pk_add_f16 v123, v179, v123
	v_fma_f16 v179, 0x388b, v116, v180
	v_pk_fma_f16 v183, 0x3770b3a8, v25, v177 op_sel:[0,0,1] op_sel_hi:[1,1,0] neg_lo:[0,1,0] neg_hi:[0,1,0]
	v_pk_fma_f16 v184, 0x3770b3a8, v25, v177 op_sel:[0,0,1] op_sel_hi:[1,1,0]
	v_add_f16_e64 v127, v181, v127
	v_fma_f16 v181, v21, 0xbbc4, -v182
	v_add_f16_e64 v152, v179, v152
	v_mul_f16_e64 v179, 0x33a8, v138
	v_bfi_b32 v184, 0xffff, v184, v183
	v_mul_f16_e64 v187, 0xb94e, v143
	v_add_f16_e64 v120, v181, v120
	v_mul_f16_e64 v181, 0xb9fd, v22
	v_fma_f16 v185, 0xbbc4, v116, v179
	v_mul_f16_e64 v186, 0x3770, v25
	v_pk_add_f16 v123, v184, v123
	v_fma_f16 v184, v21, 0xb9fd, -v187
	v_mul_f16_e64 v143, 0x3a95, v143
	v_fma_f16 v188, 0xb94e, v25, v181
	v_pk_mul_f16 v189, 0x3b15, v27 op_sel_hi:[0,1]
	v_add_f16_e64 v155, v185, v155
	v_fma_f16 v185, 0x3b15, v22, v186
	v_add_f16_e64 v125, v184, v125
	v_fma_f16 v184, v21, 0x388b, -v143
	v_add_f16_e64 v152, v188, v152
	v_pk_fma_f16 v188, 0x3770, v115, v189 op_sel:[0,0,1] op_sel_hi:[0,1,0] neg_lo:[0,1,0] neg_hi:[0,1,0]
	v_pk_mul_f16 v191, 0xb9fd, v111 op_sel_hi:[0,1]
	v_add_f16_e64 v140, v185, v140
	v_add_f16_e64 v127, v184, v127
	v_pk_fma_f16 v115, 0x3770, v115, v189 op_sel:[0,0,1] op_sel_hi:[0,1,0]
	v_pk_add_f16 v121, v188, v121
	v_pk_fma_f16 v184, 0xb94e, v117, v191 op_sel:[0,0,1] op_sel_hi:[0,1,0] neg_lo:[0,1,0] neg_hi:[0,1,0]
	v_pk_mul_f16 v188, 0x388b, v28 op_sel_hi:[0,1]
	v_alignbit_b32 v189, v140, v123, 16
	v_pk_add_f16 v19, v115, v19
	v_pk_fma_f16 v115, 0xb94e, v117, v191 op_sel:[0,0,1] op_sel_hi:[0,1,0]
	v_pk_add_f16 v117, v184, v121
	v_pk_fma_f16 v121, 0x3a95, v118, v188 op_sel:[0,0,1] op_sel_hi:[0,1,0] neg_lo:[0,1,0] neg_hi:[0,1,0]
	v_pk_mul_f16 v140, 0xb5ac, v23 op_sel_hi:[0,1]
	v_pack_b32_f16 v184, v120, v123
	v_pk_add_f16 v19, v115, v19
	v_pk_fma_f16 v115, 0x3a95, v118, v188 op_sel:[0,0,1] op_sel_hi:[0,1,0]
	v_pk_add_f16 v117, v121, v117
	v_pk_fma_f16 v118, 0xbb7b, v138, v140 op_sel:[0,0,1] op_sel_hi:[0,1,0] neg_lo:[0,1,0] neg_hi:[0,1,0]
	v_pk_mul_f16 v120, 0x2fb7, v21 op_sel_hi:[0,1]
	v_fmac_f16_e32 v126, 0xb9fd, v27
	v_pk_add_f16 v19, v115, v19
	v_pk_fma_f16 v115, 0xbb7b, v138, v140 op_sel:[0,0,1] op_sel_hi:[0,1,0]
	v_pk_add_f16 v117, v118, v117
	v_pk_fma_f16 v118, 0x3bf1, v25, v120 op_sel:[0,0,1] op_sel_hi:[0,1,0] neg_lo:[0,1,0] neg_hi:[0,1,0]
	v_fma_f16 v119, v110, 0xb5ac, -v119
	v_fma_f16 v121, v112, 0xb9fd, -v160
	v_pk_add_f16 v19, v115, v19
	v_fmac_f16_e32 v113, 0x2fb7, v27
	v_pk_add_f16 v115, v118, v117
	v_fma_f16 v117, v110, 0xb9fd, -v128
	v_add_f16_e32 v118, v126, v122
	v_add_f16_e32 v119, v26, v119
	v_fma_f16 v122, v112, 0x2fb7, -v131
	v_fmac_f16_e64 v129, 0x3b15, v111
	v_add_f16_e32 v117, v26, v117
	v_pk_fma_f16 v120, 0x3bf1, v25, v120 op_sel:[0,0,1] op_sel_hi:[0,1,0]
	v_add_f16_e32 v119, v121, v119
	v_add_f16_e32 v113, v113, v124
	v_fma_f16 v121, v114, 0x3b15, -v165
	v_add_f16_e32 v117, v122, v117
	v_fmac_f16_e64 v132, 0x388b, v111
	v_fma_f16 v122, v114, 0x388b, -v136
	v_add_f16_e64 v118, v129, v118
	v_fmac_f16_e64 v133, 0x2fb7, v28
	v_pk_add_f16 v19, v120, v19
	v_add_f16_e32 v119, v121, v119
	v_add_f16_e64 v113, v132, v113
	v_add_f16_e32 v117, v122, v117
	v_fma_f16 v120, v24, 0x2fb7, -v174
	v_fmac_f16_e64 v137, 0xbbc4, v28
	v_fma_f16 v121, v24, 0xbbc4, -v135
	v_mul_f16_e64 v185, 0x3a95, v25
	v_add_f16_e64 v118, v133, v118
	v_fmac_f16_e64 v139, 0xbbc4, v23
	v_add_f16_e32 v119, v120, v119
	v_add_f16_e64 v113, v137, v113
	v_add_f16_e32 v117, v121, v117
	v_fma_f16 v120, v116, 0xbbc4, -v179
	v_fmac_f16_e64 v141, 0x3b15, v23
	v_fma_f16 v121, v116, 0x3b15, -v142
	v_add_f16_e64 v118, v139, v118
	v_fmac_f16_e64 v143, 0x388b, v21
	v_add_f16_e32 v119, v120, v119
	v_add_f16_e64 v120, v141, v113
	v_add_f16_e32 v117, v121, v117
	v_lshrrev_b32_e32 v124, 16, v30
	v_mul_f16_e32 v113, 0xba95, v31
	v_fma_f16 v121, v22, 0x388b, -v185
	v_pack_b32_f16 v152, v125, v152
	v_alignbit_b32 v160, v115, v19, 16
	v_alignbit_b32 v142, v19, v115, 16
	v_add_f16_e64 v118, v143, v118
	v_fmac_f16_e64 v145, 0xb5ac, v21
	v_fma_f16 v122, v22, 0xb5ac, -v146
	v_lshrrev_b32_e32 v19, 16, v6
	v_fma_f16 v123, v124, 0x388b, -v113
	v_lshrrev_b32_e32 v125, 16, v32
	v_mul_f16_e32 v115, 0xbb7b, v33
	v_add_f16_e32 v119, v121, v119
	v_fma_f16 v190, 0x388b, v22, v185
	v_add_f16_e64 v120, v145, v120
	v_add_f16_e32 v121, v122, v117
	v_add_f16_e32 v122, v123, v19
	v_fma_f16 v123, v125, 0xb5ac, -v115
	v_mul_f16_e32 v117, 0xbbf1, v31
	v_pack_b32_f16 v141, v118, v119
	v_mul_f16_e32 v119, 0xbb7b, v31
	v_add_f16_e64 v155, v190, v155
	v_pack_b32_f16 v143, v120, v121
	v_add_f16_e64 v129, v123, v122
	v_fma_f16 v121, v124, 0x2fb7, -v117
	v_mul_f16_e32 v118, 0xb3a8, v33
	v_fma_f16 v123, v124, 0xb5ac, -v119
	v_mul_f16_e32 v120, 0x394e, v33
	v_pack_b32_f16 v155, v127, v155
	v_mul_f16_e32 v122, 0xb94e, v106
	v_add_f16_e32 v106, v121, v19
	v_fma_f16 v121, v125, 0xbbc4, -v118
	v_add_f16_e32 v127, v123, v19
	v_fma_f16 v128, v125, 0xb9fd, -v120
	v_mul_f16_e32 v126, 0xb94e, v31
	v_fma_f16 v131, 0xb9fd, v30, v122
	v_add_f16_e64 v132, v121, v106
	v_mul_f16_e32 v123, 0x3bf1, v109
	v_add_f16_e64 v133, v128, v127
	v_fma_f16 v109, v124, 0xb9fd, -v126
	v_mul_f16_e32 v127, 0x3bf1, v33
	v_lshrrev_b32_e32 v128, 16, v35
	v_mul_f16_e32 v106, 0xb3a8, v34
	v_add_f16_e64 v131, v131, v6
	v_fma_f16 v135, 0x2fb7, v32, v123
	v_add_f16_e64 v136, v109, v19
	v_fma_f16 v137, v125, 0x2fb7, -v127
	v_mul_f16_e32 v109, 0x3b7b, v34
	v_mul_f16_e32 v121, 0x3770, v34
	v_fma_f16 v138, v128, 0xbbc4, -v106
	v_add_f16_e64 v131, v135, v131
	v_add_f16_e64 v135, v137, v136
	v_fma_f16 v136, v128, 0xb5ac, -v109
	v_fma_f16 v137, v128, 0x3b15, -v121
	v_add_f16_e64 v138, v138, v129
	v_fma_f16 v129, v110, 0x388b, -v149
	v_fma_f16 v110, v110, 0x2fb7, -v156
	v_fmac_f16_e64 v150, 0x388b, v27
	v_add_f16_e64 v132, v136, v132
	v_add_f16_e64 v136, v137, v133
	;; [unrolled: 1-line block ×3, first 2 shown]
	v_fma_f16 v133, v112, 0xb5ac, -v153
	v_fmac_f16_e64 v157, 0xbbc4, v27
	v_fma_f16 v27, v112, 0xbbc4, -v154
	v_add_f16_e32 v110, v26, v110
	v_pk_add_f16 v112, v144, v147
	v_add_f16_e64 v129, v133, v129
	v_fmac_f16_e64 v161, 0x2fb7, v111
	v_fmac_f16_e64 v159, 0xb5ac, v111
	v_add_f16_e32 v27, v27, v110
	v_fma_f16 v110, v114, 0xbbc4, -v163
	v_fma_f16 v111, v114, 0xb5ac, -v167
	v_pk_add_f16 v112, v158, v112
	v_add_f16_e64 v133, v157, v148
	v_fmac_f16_e64 v164, 0xb5ac, v28
	v_add_f16_e64 v110, v110, v129
	v_add_f16_e32 v27, v111, v27
	v_fma_f16 v111, v24, 0xb9fd, -v168
	v_fma_f16 v24, v24, 0x3b15, -v173
	v_fmac_f16_e64 v171, 0x3b15, v28
	v_pk_add_f16 v28, v166, v112
	v_add_f16_e64 v26, v26, v134
	v_add_f16_e32 v110, v111, v110
	v_add_f16_e32 v24, v24, v27
	v_fma_f16 v27, v116, 0x2fb7, -v172
	v_fma_f16 v112, v116, 0x388b, -v180
	v_mul_f16_e32 v116, 0xb94e, v25
	v_add_f16_e64 v129, v159, v133
	v_add_f16_e64 v26, v151, v26
	v_add_f16_e32 v27, v27, v110
	v_pk_mul_f16 v25, 0x3770b3a8, v25
	v_bfi_b32 v110, 0xffff, v116, v28
	v_add_f16_e64 v130, v150, v130
	v_add_f16_e64 v111, v171, v129
	v_fmac_f16_e64 v175, 0xb9fd, v23
	v_fmac_f16_e64 v178, 0x388b, v23
	v_add_f16_e64 v23, v162, v26
	v_pack_b32_f16 v26, v112, v177
	v_bfi_b32 v24, 0xffff, v24, v25
	v_pk_add_f16 v25, v181, v110 neg_lo:[0,1] neg_hi:[0,1]
	v_pk_add_f16 v28, v169, v28
	v_add_f16_e64 v114, v161, v130
	v_add_f16_e64 v110, v178, v111
	v_pk_add_f16 v24, v26, v24
	v_fmac_f16_e64 v187, 0xb9fd, v21
	v_bfi_b32 v25, 0xffff, v25, v28
	v_add_f16_e64 v114, v164, v114
	v_add_f16_e64 v23, v170, v23
	v_mul_f16_e32 v116, 0xba95, v92
	v_add_f16_e64 v26, v187, v110
	v_pk_add_f16 v24, v25, v24
	v_lshrrev_b32_e32 v137, 16, v37
	v_mul_f16_e32 v110, 0x3770, v36
	v_add_f16_e64 v114, v175, v114
	v_fma_f16 v22, v22, 0x3b15, -v186
	v_fmac_f16_e64 v182, 0xbbc4, v21
	v_fmamk_f16 v21, v35, 0x388b, v116
	v_add_f16_e64 v23, v176, v23
	v_pack_b32_f16 v145, v26, v24
	v_mul_f16_e64 v129, 0xbbf1, v36
	v_mul_f16_e64 v130, 0x33a8, v93
	v_fma_f16 v26, v137, 0x3b15, -v110
	v_add_f16_e32 v22, v22, v27
	v_add_f16_e64 v25, v21, v131
	v_mul_f16_e64 v133, 0xba95, v34
	v_add_f16_e64 v27, v182, v114
	v_add_f16_e64 v23, v183, v23
	v_mul_f16_e32 v21, 0x394e, v36
	v_fma_f16 v28, v137, 0x2fb7, -v129
	v_fma_f16 v92, 0xbbc4, v37, v130
	v_add_f16_e64 v26, v26, v132
	v_mul_f16_e64 v132, 0x3770, v104
	v_alignbit_b32 v144, v22, v24, 16
	v_fma_f16 v22, v128, 0x388b, -v133
	v_fma_f16 v24, v137, 0xb9fd, -v21
	v_pack_b32_f16 v146, v27, v23
	v_add_f16_e64 v27, v28, v136
	v_add_f16_e32 v25, v92, v25
	v_lshrrev_b32_e32 v136, 16, v40
	v_mul_f16_e32 v23, 0x3bf1, v39
	v_mul_f16_e32 v112, 0xba95, v39
	v_mul_f16_e64 v131, 0x33a8, v39
	v_fma_f16 v111, 0x3b15, v40, v132
	v_add_f16_e64 v22, v22, v135
	v_add_f16_e64 v24, v24, v138
	v_mul_f16_e64 v135, 0x33a8, v36
	v_fma_f16 v92, v136, 0x2fb7, -v23
	v_fma_f16 v93, v136, 0x388b, -v112
	;; [unrolled: 1-line block ×3, first 2 shown]
	v_add_f16_e64 v147, v111, v25
	v_pk_fma_f16 v25, 0xba95b770, v31, v87 op_sel:[0,0,1] op_sel_hi:[1,1,0] neg_lo:[0,1,0] neg_hi:[0,1,0]
	v_fma_f16 v28, v137, 0xbbc4, -v135
	v_add_f16_e32 v24, v92, v24
	v_add_f16_e32 v92, v93, v26
	;; [unrolled: 1-line block ×3, first 2 shown]
	v_lshrrev_b32_e32 v140, 16, v53
	v_mul_f16_e32 v111, 0x3770, v54
	v_pk_fma_f16 v26, 0xbb7bba95, v33, v89 op_sel:[0,0,1] op_sel_hi:[1,1,0] neg_lo:[0,1,0] neg_hi:[0,1,0]
	v_add_f16_e32 v27, v25, v19
	v_add_f16_e32 v22, v28, v22
	v_mul_f16_e64 v138, 0x3770, v39
	v_fma_f16 v89, v140, 0x3b15, -v111
	v_pk_fma_f16 v28, 0xb3a8bbf1, v34, v90 op_sel:[0,0,1] op_sel_hi:[1,1,0] neg_lo:[0,1,0] neg_hi:[0,1,0]
	v_add_f16_e32 v27, v26, v27
	v_pk_fma_f16 v104, 0x394ebb7b, v36, v91 op_sel:[0,0,1] op_sel_hi:[1,1,0] neg_lo:[0,1,0] neg_hi:[0,1,0]
	v_fma_f16 v87, v136, 0x3b15, -v138
	v_add_f16_e32 v89, v89, v24
	v_mul_f16_e32 v114, 0xb94e, v54
	v_add_f16_e32 v24, v28, v27
	v_mul_f16_e64 v134, 0x3a95, v54
	v_add_f16_e32 v22, v87, v22
	v_mul_f16_e64 v139, 0xbb7b, v54
	v_pk_fma_f16 v27, 0x3bf1b94e, v39, v105 op_sel:[0,0,1] op_sel_hi:[1,1,0] neg_lo:[0,1,0] neg_hi:[0,1,0]
	v_add_f16_e32 v87, v104, v24
	v_mul_f16_e32 v105, 0xbb7b, v107
	v_fma_f16 v90, v140, 0xb9fd, -v114
	v_fma_f16 v91, v140, 0x388b, -v134
	;; [unrolled: 1-line block ×3, first 2 shown]
	v_pk_fma_f16 v24, 0x3770b3a8, v54, v108 op_sel:[0,0,1] op_sel_hi:[1,1,0] neg_lo:[0,1,0] neg_hi:[0,1,0]
	v_add_f16_e32 v87, v27, v87
	v_fmamk_f16 v108, v53, 0xb5ac, v105
	v_add_co_u32 v148, null, v78, 13
	v_add_f16_e32 v90, v90, v92
	v_add_f16_e32 v92, v91, v93
	;; [unrolled: 1-line block ×4, first 2 shown]
	v_add_f16_e64 v22, v108, v147
	v_mul_u32_u24_e32 v87, 13, v148
	ds_store_2addr_b32 v88, v184, v189 offset0:1 offset1:2
	ds_store_2addr_b32 v88, v152, v155 offset0:3 offset1:4
	;; [unrolled: 1-line block ×5, first 2 shown]
	ds_store_b32 v88, v146 offset:48
	s_and_saveexec_b32 s2, vcc_lo
	s_cbranch_execz .LBB0_7
; %bb.6:
	v_mul_f16_e64 v144, 0xb5ac, v30
	v_mul_f16_e64 v141, 0x388b, v124
	;; [unrolled: 1-line block ×4, first 2 shown]
	v_mul_f16_e32 v124, 0xb9fd, v124
	v_mul_f16_e64 v151, 0xb9fd, v32
	v_sub_f16_e64 v56, v144, v56
	v_mul_f16_e64 v148, 0xb5ac, v125
	v_mul_f16_e64 v150, 0xbbc4, v125
	;; [unrolled: 1-line block ×3, first 2 shown]
	v_mul_f16_e32 v125, 0x2fb7, v125
	v_mul_f16_e64 v158, 0x3b15, v35
	v_add_f16_e32 v124, v126, v124
	v_add_f16_e32 v56, v56, v6
	v_sub_f16_e64 v94, v151, v94
	v_mul_f16_e64 v155, 0xbbc4, v128
	v_mul_f16_e64 v157, 0xb5ac, v128
	;; [unrolled: 1-line block ×5, first 2 shown]
	v_add_f16_e32 v124, v124, v19
	v_add_f16_e32 v125, v127, v125
	;; [unrolled: 1-line block ×3, first 2 shown]
	v_sub_f16_e64 v94, v158, v97
	v_mul_f16_e64 v162, 0xb9fd, v137
	v_mul_f16_e64 v164, 0x3b15, v137
	;; [unrolled: 1-line block ×4, first 2 shown]
	v_mul_f16_e32 v127, 0xbbc4, v40
	v_add_f16_e32 v124, v125, v124
	v_add_f16_e64 v125, v133, v128
	v_add_f16_e32 v56, v94, v56
	v_sub_f16_e64 v94, v165, v101
	v_mul_f16_e64 v142, 0x2fb7, v30
	v_alignbit_b32 v107, v6, v6, 16
	v_add_f16_e32 v124, v125, v124
	v_add_f16_e64 v125, v135, v137
	v_mul_f16_e64 v135, 0x388b, v53
	v_add_f16_e32 v56, v94, v56
	v_sub_f16_e32 v94, v127, v103
	v_mul_f16_e64 v149, 0xbbc4, v32
	v_sub_f16_e64 v48, v142, v48
	v_sub_f16_e64 v20, v135, v20
	v_mul_f16_e64 v156, 0xb5ac, v35
	v_add_f16_e32 v56, v94, v56
	v_add_f16_e64 v119, v119, v145
	v_add_f16_e64 v101, v117, v143
	v_add_f16_e32 v48, v48, v6
	v_sub_f16_e64 v49, v149, v49
	v_add_f16_e32 v20, v20, v56
	v_add_f16_e64 v56, v113, v141
	v_pk_add_f16 v7, v7, v107 op_sel:[0,1] op_sel_hi:[1,0]
	v_add_f16_e32 v119, v119, v19
	v_add_f16_e32 v101, v101, v19
	;; [unrolled: 1-line block ×3, first 2 shown]
	v_sub_f16_e64 v49, v156, v55
	v_add_f16_e32 v19, v56, v19
	v_add_f16_e64 v55, v115, v148
	v_pk_add_f16 v7, v10, v7
	v_mul_f16_e32 v108, 0x3b15, v30
	v_mul_f16_e64 v146, 0xb9fd, v30
	v_mul_f16_e64 v147, 0x388b, v32
	v_add_f16_e32 v19, v55, v19
	v_add_f16_e64 v55, v106, v155
	v_pk_add_f16 v7, v11, v7
	v_sub_f16_e64 v122, v146, v122
	v_add_f16_e64 v10, v21, v162
	v_sub_f16_e32 v41, v108, v41
	v_add_f16_e32 v19, v55, v19
	v_pk_add_f16 v7, v8, v7
	v_mul_f16_e64 v154, 0x2fb7, v35
	v_mul_f16_e64 v168, 0x2fb7, v136
	v_add_f16_e32 v122, v122, v6
	v_add_f16_e64 v103, v118, v150
	v_add_f16_e32 v10, v10, v19
	v_add_f16_e32 v6, v41, v6
	v_sub_f16_e64 v19, v147, v44
	v_pk_add_f16 v7, v9, v7
	v_mul_f16_e64 v133, 0x3b15, v140
	v_add_f16_e32 v94, v103, v101
	v_add_f16_e64 v101, v109, v157
	v_add_f16_e64 v11, v23, v168
	v_add_f16_e32 v6, v19, v6
	v_sub_f16_e64 v9, v154, v46
	v_pk_add_f16 v4, v4, v7
	v_mul_f16_e64 v170, 0x388b, v136
	v_add_f16_e32 v94, v101, v94
	v_add_f16_e64 v101, v110, v164
	v_add_f16_e32 v10, v11, v10
	v_add_f16_e64 v11, v111, v133
	v_add_f16_e32 v6, v9, v6
	v_bfi_b32 v9, 0xffff, v38, v25
	v_pk_add_f16 v4, v5, v4
	v_mul_f16_e64 v174, 0xb9fd, v140
	v_add_f16_e32 v56, v101, v94
	v_add_f16_e64 v94, v112, v170
	v_add_f16_e32 v10, v11, v10
	v_bfi_b32 v11, 0xffff, v42, v26
	v_pk_add_f16 v2, v2, v4
	v_pk_add_f16 v4, v9, v107
	v_mul_f16_e64 v153, 0x2fb7, v32
	v_add_f16_e32 v56, v94, v56
	v_add_f16_e64 v21, v114, v174
	v_bfi_b32 v5, 0xffff, v50, v28
	v_pk_add_f16 v2, v3, v2
	v_pk_add_f16 v3, v11, v4
	v_pk_mul_f16 v4, 0xb3a8, v31 op_sel_hi:[0,1]
	v_mul_f16_e64 v160, 0x388b, v35
	v_sub_f16_e64 v123, v153, v123
	v_add_f16_e32 v19, v21, v56
	v_bfi_b32 v21, 0xffff, v52, v104
	v_pk_add_f16 v0, v0, v2
	v_pk_add_f16 v2, v5, v3
	v_pk_fma_f16 v3, 0xbbc4, v30, v4 op_sel:[0,0,1] op_sel_hi:[0,1,0] neg_lo:[0,0,1] neg_hi:[0,0,1]
	v_pk_fma_f16 v4, 0xbbc4, v30, v4 op_sel:[0,0,1] op_sel_hi:[0,1,0]
	v_pk_mul_f16 v5, 0x3770, v33 op_sel_hi:[0,1]
	v_mul_f16_e64 v167, 0xbbc4, v37
	v_add_f16_e32 v122, v123, v122
	v_sub_f16_e64 v116, v160, v116
	v_add_f16_e64 v120, v120, v152
	v_bfi_b32 v9, 0xffff, v98, v27
	v_pk_add_f16 v0, v1, v0
	v_pk_add_f16 v1, v21, v2
	v_bfi_b32 v2, 0xffff, v3, v4
	v_pk_fma_f16 v21, 0x3b15, v32, v5 op_sel:[0,0,1] op_sel_hi:[0,1,0] neg_lo:[0,0,1] neg_hi:[0,0,1]
	v_pk_fma_f16 v5, 0x3b15, v32, v5 op_sel:[0,0,1] op_sel_hi:[0,1,0]
	v_pk_mul_f16 v23, 0xb94e, v34 op_sel_hi:[0,1]
	v_bfi_b32 v3, 0xffff, v4, v3
	v_mul_f16_e64 v161, 0xb5ac, v37
	v_mul_f16_e64 v163, 0x3b15, v37
	;; [unrolled: 1-line block ×5, first 2 shown]
	v_add_f16_e32 v116, v116, v122
	v_sub_f16_e64 v122, v167, v130
	v_add_f16_e32 v119, v120, v119
	v_add_f16_e64 v120, v121, v159
	v_bfi_b32 v11, 0xffff, v99, v24
	v_pk_add_f16 v1, v9, v1
	v_pk_add_f16 v2, v2, v107 op_sel:[0,1] op_sel_hi:[1,0]
	v_bfi_b32 v9, 0xffff, v21, v5
	v_pk_fma_f16 v24, 0xb9fd, v35, v23 op_sel:[0,0,1] op_sel_hi:[0,1,0] neg_lo:[0,0,1] neg_hi:[0,0,1]
	v_pk_fma_f16 v23, 0xb9fd, v35, v23 op_sel:[0,0,1] op_sel_hi:[0,1,0]
	v_pk_mul_f16 v4, 0x3a95, v36 op_sel_hi:[0,1]
	v_pk_add_f16 v3, v3, v107 op_sel:[0,1] op_sel_hi:[1,0]
	v_bfi_b32 v5, 0xffff, v5, v21
	v_mul_f16_e32 v126, 0xb9fd, v40
	v_sub_f16_e64 v7, v161, v47
	v_mul_f16_e64 v169, 0x388b, v40
	v_add_f16_e32 v124, v125, v124
	v_add_f16_e64 v125, v138, v136
	v_mul_f16_e64 v136, 0xb5ac, v53
	v_add_f16_e32 v116, v122, v116
	v_sub_f16_e64 v121, v172, v132
	v_add_f16_e32 v119, v120, v119
	v_add_f16_e64 v120, v129, v166
	v_add_f16_e32 v48, v49, v48
	v_sub_f16_e64 v49, v163, v96
	v_pk_add_f16 v1, v11, v1
	v_pk_add_f16 v2, v9, v2
	v_bfi_b32 v9, 0xffff, v24, v23
	v_pk_fma_f16 v11, 0x388b, v37, v4 op_sel:[0,0,1] op_sel_hi:[0,1,0] neg_lo:[0,0,1] neg_hi:[0,0,1]
	v_pk_fma_f16 v4, 0x388b, v37, v4 op_sel:[0,0,1] op_sel_hi:[0,1,0]
	v_pk_mul_f16 v21, 0xbb7b, v39 op_sel_hi:[0,1]
	v_pk_add_f16 v3, v5, v3
	v_bfi_b32 v5, 0xffff, v23, v24
	v_mul_f16_e64 v128, 0xbbc4, v53
	v_add_f16_e32 v6, v7, v6
	v_sub_f16_e32 v7, v126, v51
	v_mul_f16_e64 v173, 0xb9fd, v53
	v_mul_f16_e64 v137, 0x388b, v140
	v_add_f16_e32 v97, v121, v116
	v_sub_f16_e64 v105, v136, v105
	v_add_f16_e32 v116, v120, v119
	v_add_f16_e64 v119, v131, v171
	v_add_f16_e32 v48, v49, v48
	v_sub_f16_e64 v49, v169, v95
	v_mul_f16_e64 v140, 0xb5ac, v140
	v_pk_add_f16 v2, v9, v2
	v_bfi_b32 v9, 0xffff, v11, v4
	v_pk_fma_f16 v23, 0xb5ac, v40, v21 op_sel:[0,0,1] op_sel_hi:[0,1,0] neg_lo:[0,0,1] neg_hi:[0,0,1]
	v_pk_fma_f16 v21, 0xb5ac, v40, v21 op_sel:[0,0,1] op_sel_hi:[0,1,0]
	v_pk_mul_f16 v24, 0x3bf1, v54 op_sel_hi:[0,1]
	v_pk_add_f16 v3, v5, v3
	v_bfi_b32 v4, 0xffff, v4, v11
	v_add_f16_e32 v6, v7, v6
	v_sub_f16_e64 v7, v128, v100
	v_add_f16_e32 v97, v105, v97
	v_add_f16_e32 v105, v119, v116
	v_add_f16_e64 v116, v134, v137
	v_add_f16_e32 v48, v49, v48
	v_sub_f16_e64 v8, v173, v102
	v_add_f16_e32 v124, v125, v124
	v_add_f16_e64 v125, v139, v140
	v_pk_add_f16 v2, v9, v2
	v_bfi_b32 v5, 0xffff, v23, v21
	v_pk_fma_f16 v9, 0x2fb7, v53, v24 op_sel:[0,0,1] op_sel_hi:[0,1,0] neg_lo:[0,0,1] neg_hi:[0,0,1]
	v_pk_fma_f16 v11, 0x2fb7, v53, v24 op_sel:[0,0,1] op_sel_hi:[0,1,0]
	v_pk_add_f16 v3, v4, v3
	v_bfi_b32 v4, 0xffff, v21, v23
	v_add_f16_e32 v6, v7, v6
	v_add_f16_e32 v105, v116, v105
	;; [unrolled: 1-line block ×4, first 2 shown]
	v_pk_add_f16 v2, v5, v2
	v_bfi_b32 v5, 0xffff, v9, v11
	v_pk_add_f16 v3, v4, v3
	v_bfi_b32 v4, 0xffff, v11, v9
	v_lshl_add_u32 v7, v87, 2, v86
	v_pk_add_f16 v0, v29, v0
	v_alignbit_b32 v10, v10, v1, 16
	v_pack_b32_f16 v1, v6, v1
	v_pack_b32_f16 v6, v20, v105
	;; [unrolled: 1-line block ×3, first 2 shown]
	v_pk_add_f16 v2, v5, v2
	v_pack_b32_f16 v5, v97, v123
	v_pk_add_f16 v3, v4, v3
	v_perm_b32 v4, v93, v22, 0x5040100
	v_perm_b32 v9, v90, v18, 0x5040100
	;; [unrolled: 1-line block ×5, first 2 shown]
	ds_store_b32 v7, v0
	ds_store_2addr_b32 v7, v1, v10 offset0:1 offset1:2
	ds_store_2addr_b32 v7, v8, v6 offset0:3 offset1:4
	;; [unrolled: 1-line block ×6, first 2 shown]
.LBB0_7:
	s_wait_alu 0xfffe
	s_or_b32 exec_lo, exec_lo, s2
	v_lshlrev_b32_e32 v0, 3, v78
	global_wb scope:SCOPE_SE
	s_wait_dscnt 0x0
	s_barrier_signal -1
	s_barrier_wait -1
	global_inv scope:SCOPE_SE
	global_load_b64 v[19:20], v0, s[0:1]
	v_add_nc_u16 v0, v78, 26
	v_add_nc_u16 v1, v78, 39
	;; [unrolled: 1-line block ×5, first 2 shown]
	v_and_b32_e32 v3, 0xff, v0
	v_and_b32_e32 v5, 0xff, v1
	;; [unrolled: 1-line block ×5, first 2 shown]
	v_mul_lo_u16 v3, 0x4f, v3
	v_mul_lo_u16 v5, 0x4f, v5
	;; [unrolled: 1-line block ×5, first 2 shown]
	v_lshrrev_b16 v3, 10, v3
	v_lshrrev_b16 v5, 10, v5
	;; [unrolled: 1-line block ×5, first 2 shown]
	v_mul_lo_u16 v3, v3, 13
	v_mul_lo_u16 v5, v5, 13
	;; [unrolled: 1-line block ×3, first 2 shown]
	v_mad_co_u64_u32 v[41:42], null, v78, 24, s[0:1]
	s_delay_alu instid0(VALU_DEP_4)
	v_sub_nc_u16 v21, v0, v3
	v_mul_lo_u16 v0, v8, 13
	v_sub_nc_u16 v44, v1, v5
	v_mul_lo_u16 v1, v9, 13
	v_sub_nc_u16 v46, v2, v7
	v_lshlrev_b16 v2, 1, v21
	v_sub_nc_u16 v47, v4, v0
	v_lshlrev_b16 v0, 1, v44
	;; [unrolled: 2-line block ×3, first 2 shown]
	v_and_b32_e32 v2, 0xfe, v2
	v_lshlrev_b16 v3, 1, v47
	v_and_b32_e32 v0, 0xfe, v0
	v_lshlrev_b16 v4, 1, v48
	v_and_b32_e32 v1, 0xfe, v1
	v_lshlrev_b32_e32 v2, 2, v2
	v_and_b32_e32 v3, 0xfe, v3
	v_lshlrev_b32_e32 v0, 2, v0
	;; [unrolled: 2-line block ×3, first 2 shown]
	global_load_b64 v[31:32], v2, s[0:1]
	v_and_b32_e32 v21, 0xff, v21
	global_load_b64 v[29:30], v0, s[0:1]
	v_lshlrev_b32_e32 v2, 2, v3
	v_lshlrev_b32_e32 v0, 2, v4
	s_clause 0x2
	global_load_b64 v[27:28], v1, s[0:1]
	global_load_b64 v[25:26], v2, s[0:1]
	;; [unrolled: 1-line block ×3, first 2 shown]
	ds_load_2addr_b32 v[0:1], v57 offset1:13
	ds_load_2addr_b32 v[2:3], v57 offset0:78 offset1:91
	ds_load_2addr_b32 v[4:5], v57 offset0:182 offset1:195
	;; [unrolled: 1-line block ×9, first 2 shown]
	ds_load_b32 v49, v57 offset:1040
	v_and_b32_e32 v44, 0xff, v44
	v_and_b32_e32 v46, 0xff, v46
	;; [unrolled: 1-line block ×4, first 2 shown]
	v_lshl_add_u32 v94, v21, 2, v86
	v_lshl_add_u32 v95, v44, 2, v86
	;; [unrolled: 1-line block ×5, first 2 shown]
	s_wait_dscnt 0xa
	v_lshrrev_b32_e32 v50, 16, v0
	s_wait_dscnt 0x9
	v_lshrrev_b32_e32 v51, 16, v3
	;; [unrolled: 2-line block ×4, first 2 shown]
	v_lshrrev_b32_e32 v55, 16, v5
	v_lshrrev_b32_e32 v53, 16, v1
	;; [unrolled: 1-line block ×3, first 2 shown]
	s_wait_dscnt 0x5
	v_lshrrev_b32_e32 v112, 16, v10
	s_wait_dscnt 0x4
	v_lshrrev_b32_e32 v114, 16, v33
	v_lshrrev_b32_e32 v115, 16, v11
	;; [unrolled: 1-line block ×3, first 2 shown]
	s_wait_dscnt 0x2
	v_lshrrev_b32_e32 v118, 16, v37
	s_wait_dscnt 0x1
	v_lshrrev_b32_e32 v120, 16, v39
	v_lshrrev_b32_e32 v121, 16, v38
	;; [unrolled: 1-line block ×3, first 2 shown]
	s_wait_dscnt 0x0
	v_lshrrev_b32_e32 v124, 16, v49
	global_wb scope:SCOPE_SE
	s_wait_loadcnt 0x0
	s_barrier_signal -1
	s_barrier_wait -1
	global_inv scope:SCOPE_SE
	v_lshrrev_b32_e32 v56, 16, v8
	v_lshrrev_b32_e32 v113, 16, v9
	;; [unrolled: 1-line block ×5, first 2 shown]
	v_lshl_add_u32 v129, v43, 2, v45
	s_add_nc_u64 s[0:1], s[12:13], 0x444
	v_lshrrev_b32_e32 v102, 16, v19
	v_lshrrev_b32_e32 v100, 16, v20
	s_delay_alu instid0(VALU_DEP_2) | instskip(SKIP_1) | instid1(VALU_DEP_3)
	v_mul_f16_e32 v21, v51, v102
	v_mul_f16_e32 v44, v3, v102
	;; [unrolled: 1-line block ×8, first 2 shown]
	v_fma_f16 v3, v3, v19, -v21
	v_fmac_f16_e32 v44, v51, v19
	v_fma_f16 v4, v4, v20, -v46
	v_fmac_f16_e32 v47, v52, v20
	;; [unrolled: 2-line block ×4, first 2 shown]
	v_add_f16_e32 v46, v3, v4
	v_sub_f16_e32 v48, v44, v47
	v_add_f16_e32 v51, v50, v44
	v_add_f16_e32 v44, v44, v47
	;; [unrolled: 1-line block ×3, first 2 shown]
	v_sub_f16_e32 v55, v99, v103
	v_add_f16_e32 v101, v53, v99
	v_add_f16_e32 v99, v99, v103
	;; [unrolled: 1-line block ×3, first 2 shown]
	v_sub_f16_e32 v3, v3, v4
	v_fma_f16 v0, -0.5, v46, v0
	v_fmac_f16_e32 v50, -0.5, v44
	v_add_f16_e32 v52, v1, v6
	v_sub_f16_e32 v6, v6, v5
	v_fmac_f16_e32 v1, -0.5, v54
	v_fmac_f16_e32 v53, -0.5, v99
	v_add_f16_e32 v4, v21, v4
	v_add_f16_e32 v21, v51, v47
	v_fmamk_f16 v46, v48, 0x3aee, v0
	v_fmamk_f16 v47, v3, 0xbaee, v50
	v_add_f16_e32 v5, v52, v5
	v_add_f16_e32 v44, v101, v103
	v_fmac_f16_e32 v0, 0xbaee, v48
	v_fmac_f16_e32 v50, 0x3aee, v3
	v_fmamk_f16 v3, v55, 0x3aee, v1
	v_fmac_f16_e32 v1, 0xbaee, v55
	v_fmamk_f16 v48, v6, 0xbaee, v53
	v_fmac_f16_e32 v53, 0x3aee, v6
	v_pack_b32_f16 v4, v4, v21
	v_pack_b32_f16 v6, v46, v47
	v_lshrrev_b32_e32 v110, 16, v31
	v_lshrrev_b32_e32 v109, 16, v32
	v_pack_b32_f16 v5, v5, v44
	v_pack_b32_f16 v0, v0, v50
	v_lshrrev_b32_e32 v108, 16, v29
	v_lshrrev_b32_e32 v107, 16, v30
	;; [unrolled: 4-line block ×3, first 2 shown]
	v_lshrrev_b32_e32 v104, 16, v25
	v_lshrrev_b32_e32 v103, 16, v26
	;; [unrolled: 1-line block ×4, first 2 shown]
	ds_store_2addr_b32 v57, v4, v6 offset1:13
	ds_store_2addr_b32 v57, v0, v5 offset0:26 offset1:39
	ds_store_2addr_b32 v57, v3, v1 offset0:52 offset1:65
	v_mul_f16_e32 v0, v111, v110
	v_mul_f16_e32 v1, v7, v110
	;; [unrolled: 1-line block ×20, first 2 shown]
	v_fma_f16 v0, v7, v31, -v0
	v_fmac_f16_e32 v1, v111, v31
	v_fma_f16 v3, v10, v32, -v3
	v_fmac_f16_e32 v4, v112, v32
	;; [unrolled: 2-line block ×10, first 2 shown]
	v_add_f16_e32 v39, v0, v3
	v_sub_f16_e32 v40, v1, v4
	v_add_f16_e32 v46, v56, v1
	v_add_f16_e32 v1, v1, v4
	;; [unrolled: 1-line block ×3, first 2 shown]
	v_sub_f16_e32 v51, v6, v44
	v_add_f16_e32 v53, v113, v6
	v_add_f16_e32 v6, v6, v44
	;; [unrolled: 1-line block ×4, first 2 shown]
	v_sub_f16_e32 v112, v47, v50
	v_add_f16_e32 v114, v116, v47
	v_add_f16_e32 v47, v47, v50
	v_add_f16_e32 v117, v21, v33
	v_sub_f16_e32 v118, v52, v54
	v_add_f16_e32 v120, v119, v52
	v_add_f16_e32 v52, v52, v54
	v_add_f16_e32 v123, v34, v37
	;; [unrolled: 4-line block ×3, first 2 shown]
	v_sub_f16_e32 v0, v0, v3
	v_add_f16_e32 v48, v9, v5
	v_add_f16_e32 v115, v36, v21
	v_fma_f16 v8, -0.5, v39, v8
	v_fmac_f16_e32 v56, -0.5, v1
	v_sub_f16_e32 v5, v5, v7
	v_fmac_f16_e32 v9, -0.5, v49
	v_fmac_f16_e32 v113, -0.5, v6
	v_sub_f16_e32 v10, v10, v11
	v_add_f16_e32 v6, v55, v11
	v_fma_f16 v11, -0.5, v111, v35
	v_fmac_f16_e32 v116, -0.5, v47
	v_sub_f16_e32 v21, v21, v33
	v_fmac_f16_e32 v36, -0.5, v117
	v_fmac_f16_e32 v119, -0.5, v52
	v_add_f16_e32 v121, v2, v34
	v_sub_f16_e32 v34, v34, v37
	v_fmac_f16_e32 v2, -0.5, v123
	v_fmac_f16_e32 v122, -0.5, v125
	v_add_f16_e32 v3, v38, v3
	v_add_f16_e32 v4, v46, v4
	;; [unrolled: 1-line block ×7, first 2 shown]
	v_fmamk_f16 v44, v40, 0x3aee, v8
	v_fmac_f16_e32 v8, 0xbaee, v40
	v_fmamk_f16 v40, v0, 0xbaee, v56
	v_fmac_f16_e32 v56, 0x3aee, v0
	v_fmamk_f16 v0, v51, 0x3aee, v9
	v_fmamk_f16 v46, v5, 0xbaee, v113
	v_fmac_f16_e32 v113, 0x3aee, v5
	v_fmamk_f16 v5, v112, 0x3aee, v11
	;; [unrolled: 3-line block ×3, first 2 shown]
	v_fmamk_f16 v48, v21, 0xbaee, v119
	v_add_f16_e32 v37, v121, v37
	v_add_f16_e32 v39, v126, v127
	v_fmac_f16_e32 v9, 0xbaee, v51
	v_fmac_f16_e32 v11, 0xbaee, v112
	;; [unrolled: 1-line block ×4, first 2 shown]
	v_fmamk_f16 v21, v124, 0x3aee, v2
	v_fmac_f16_e32 v2, 0xbaee, v124
	v_fmamk_f16 v49, v34, 0xbaee, v122
	v_fmac_f16_e32 v122, 0x3aee, v34
	v_pack_b32_f16 v3, v3, v4
	v_pack_b32_f16 v4, v6, v35
	;; [unrolled: 1-line block ×15, first 2 shown]
	ds_store_2addr_b32 v94, v3, v33 offset0:78 offset1:91
	ds_store_2addr_b32 v95, v1, v0 offset0:117 offset1:130
	;; [unrolled: 1-line block ×5, first 2 shown]
	ds_store_b32 v94, v8 offset:416
	ds_store_b32 v95, v9 offset:572
	ds_store_b32 v96, v11 offset:728
	ds_store_b32 v97, v34 offset:884
	ds_store_b32 v98, v2 offset:1040
	global_wb scope:SCOPE_SE
	s_wait_dscnt 0x0
	s_barrier_signal -1
	s_barrier_wait -1
	global_inv scope:SCOPE_SE
	s_clause 0x5
	global_load_b128 v[4:7], v[41:42], off offset:104
	global_load_b64 v[33:34], v[41:42], off offset:120
	global_load_b128 v[8:11], v[41:42], off offset:416
	global_load_b64 v[35:36], v[41:42], off offset:432
	;; [unrolled: 2-line block ×3, first 2 shown]
	ds_load_2addr_b32 v[41:42], v57 offset1:13
	ds_load_2addr_b32 v[39:40], v57 offset0:26 offset1:39
	ds_load_2addr_b32 v[46:47], v57 offset0:78 offset1:91
	;; [unrolled: 1-line block ×9, first 2 shown]
	ds_load_b32 v21, v57 offset:1040
	v_add_nc_u32_e32 v56, 0x200, v129
	s_wait_dscnt 0xa
	v_lshrrev_b32_e32 v43, 16, v41
	s_wait_dscnt 0x9
	v_lshrrev_b32_e32 v44, 16, v40
	;; [unrolled: 2-line block ×8, first 2 shown]
	v_lshrrev_b32_e32 v143, 16, v47
	s_wait_dscnt 0x2
	v_lshrrev_b32_e32 v144, 16, v132
	v_lshrrev_b32_e32 v145, 16, v51
	s_wait_dscnt 0x1
	v_lshrrev_b32_e32 v146, 16, v134
	v_lshrrev_b32_e32 v147, 16, v55
	;; [unrolled: 1-line block ×5, first 2 shown]
	s_wait_dscnt 0x0
	v_lshrrev_b32_e32 v154, 16, v21
	v_lshrrev_b32_e32 v151, 16, v133
	;; [unrolled: 1-line block ×5, first 2 shown]
	s_wait_loadcnt 0x5
	v_lshrrev_b32_e32 v128, 16, v4
	v_lshrrev_b32_e32 v127, 16, v5
	;; [unrolled: 1-line block ×4, first 2 shown]
	s_wait_loadcnt 0x4
	v_lshrrev_b32_e32 v124, 16, v33
	v_lshrrev_b32_e32 v123, 16, v34
	s_wait_loadcnt 0x3
	v_lshrrev_b32_e32 v122, 16, v8
	v_lshrrev_b32_e32 v121, 16, v9
	;; [unrolled: 1-line block ×4, first 2 shown]
	s_wait_loadcnt 0x2
	v_lshrrev_b32_e32 v118, 16, v35
	v_lshrrev_b32_e32 v117, 16, v36
	s_wait_loadcnt 0x1
	v_lshrrev_b32_e32 v116, 16, v0
	v_lshrrev_b32_e32 v115, 16, v1
	;; [unrolled: 3-line block ×3, first 2 shown]
	v_lshrrev_b32_e32 v114, 16, v2
	v_lshrrev_b32_e32 v113, 16, v3
	v_mul_f16_e64 v155, v44, v128
	v_mul_f16_e64 v156, v40, v128
	;; [unrolled: 1-line block ×34, first 2 shown]
	v_fma_f16 v40, v40, v4, -v155
	v_fmac_f16_e64 v156, v44, v4
	v_fma_f16 v44, v46, v5, -v157
	v_fmac_f16_e64 v158, v136, v5
	v_fma_f16 v46, v49, v6, -v159
	v_fma_f16 v49, v50, v7, -v161
	;; [unrolled: 1-line block ×3, first 2 shown]
	v_fmac_f16_e64 v164, v139, v33
	v_fma_f16 v53, v54, v34, -v165
	v_fmac_f16_e64 v166, v140, v34
	v_mul_f16_e64 v184, v133, v114
	v_mul_f16_e64 v186, v52, v113
	v_fmac_f16_e64 v160, v137, v6
	v_fmac_f16_e64 v162, v138, v7
	v_fma_f16 v54, v130, v8, -v167
	v_fmac_f16_e64 v168, v142, v8
	v_fma_f16 v47, v47, v9, -v169
	;; [unrolled: 2-line block ×11, first 2 shown]
	v_fma_f16 v52, v52, v3, -v185
	v_add_f16_e64 v135, v40, v53
	v_add_f16_e64 v136, v156, v166
	;; [unrolled: 1-line block ×4, first 2 shown]
	v_fmac_f16_e64 v184, v151, v2
	v_fmac_f16_e64 v186, v152, v3
	v_sub_f16_e32 v40, v40, v53
	v_sub_f16_e64 v53, v156, v166
	v_sub_f16_e32 v44, v44, v50
	v_sub_f16_e64 v50, v158, v164
	v_add_f16_e64 v139, v46, v49
	v_add_f16_e64 v140, v160, v162
	v_sub_f16_e32 v46, v49, v46
	v_sub_f16_e64 v49, v162, v160
	v_add_f16_e64 v142, v54, v55
	v_add_f16_e64 v143, v168, v178
	;; [unrolled: 4-line block ×3, first 2 shown]
	v_sub_f16_e64 v47, v47, v132
	v_sub_f16_e64 v132, v170, v176
	v_add_f16_e64 v146, v130, v51
	v_sub_f16_e64 v51, v51, v130
	v_sub_f16_e64 v130, v174, v172
	v_add_f16_e64 v149, v131, v21
	v_add_f16_e64 v150, v180, v190
	;; [unrolled: 1-line block ×4, first 2 shown]
	v_sub_f16_e64 v21, v131, v21
	v_sub_f16_e64 v48, v48, v134
	v_add_f16_e64 v153, v133, v52
	v_sub_f16_e64 v52, v52, v133
	v_add_f16_e64 v155, v137, v135
	v_add_f16_e64 v156, v138, v136
	;; [unrolled: 1-line block ×3, first 2 shown]
	v_sub_f16_e64 v131, v180, v190
	v_sub_f16_e64 v134, v182, v188
	;; [unrolled: 1-line block ×3, first 2 shown]
	v_add_f16_e64 v154, v184, v186
	v_sub_f16_e64 v157, v137, v135
	v_sub_f16_e64 v158, v138, v136
	;; [unrolled: 1-line block ×6, first 2 shown]
	v_add_f16_e64 v159, v46, v44
	v_add_f16_e64 v160, v49, v50
	v_sub_f16_e64 v161, v46, v44
	v_sub_f16_e64 v162, v49, v50
	v_sub_f16_e32 v44, v44, v40
	v_sub_f16_e32 v50, v50, v53
	v_add_f16_e64 v163, v144, v142
	v_add_f16_e64 v164, v145, v143
	v_sub_f16_e64 v165, v144, v142
	v_sub_f16_e64 v144, v146, v144
	v_add_f16_e64 v167, v51, v47
	v_add_f16_e64 v168, v130, v132
	v_sub_f16_e64 v169, v51, v47
	v_sub_f16_e64 v170, v130, v132
	v_sub_f16_e32 v47, v47, v54
	v_sub_f16_e64 v132, v132, v55
	v_add_f16_e64 v171, v151, v149
	v_add_f16_e64 v172, v152, v150
	v_sub_f16_e64 v142, v142, v146
	v_add_f16_e64 v175, v52, v48
	v_sub_f16_e64 v177, v52, v48
	v_sub_f16_e32 v48, v48, v21
	v_add_f16_e64 v139, v139, v155
	v_add_f16_e64 v140, v140, v156
	v_sub_f16_e64 v166, v145, v143
	v_sub_f16_e64 v143, v143, v147
	;; [unrolled: 1-line block ×3, first 2 shown]
	v_add_f16_e64 v176, v133, v134
	v_sub_f16_e64 v178, v133, v134
	v_sub_f16_e64 v134, v134, v131
	v_sub_f16_e32 v46, v40, v46
	v_sub_f16_e32 v49, v53, v49
	;; [unrolled: 1-line block ×3, first 2 shown]
	v_sub_f16_e64 v130, v55, v130
	v_sub_f16_e64 v173, v151, v149
	;; [unrolled: 1-line block ×7, first 2 shown]
	v_add_f16_e64 v40, v159, v40
	v_add_f16_e64 v53, v160, v53
	v_mul_f16_e64 v135, 0x3a52, v135
	v_mul_f16_e64 v136, 0x3a52, v136
	;; [unrolled: 1-line block ×8, first 2 shown]
	v_add_f16_e64 v146, v146, v163
	v_add_f16_e64 v147, v147, v164
	;; [unrolled: 1-line block ×4, first 2 shown]
	v_mul_f16_e64 v163, 0x2b26, v144
	v_mul_f16_e64 v167, 0xb846, v169
	;; [unrolled: 1-line block ×5, first 2 shown]
	v_add_f16_e64 v153, v153, v171
	v_add_f16_e64 v154, v154, v172
	v_sub_f16_e32 v52, v21, v52
	v_mul_f16_e64 v142, 0x3a52, v142
	v_add_f16_e64 v21, v175, v21
	v_mul_f16_e64 v175, 0xb846, v177
	v_mul_f16_e64 v177, 0x3b00, v48
	v_add_f16_e64 v41, v41, v139
	v_add_f16_e64 v43, v43, v140
	v_sub_f16_e64 v133, v131, v133
	v_mul_f16_e64 v143, 0x3a52, v143
	v_mul_f16_e64 v164, 0x2b26, v145
	v_add_f16_e64 v131, v176, v131
	v_mul_f16_e64 v176, 0xb846, v178
	v_mul_f16_e64 v178, 0x3b00, v134
	;; [unrolled: 1-line block ×6, first 2 shown]
	v_fma_f16 v137, 0x2b26, v137, v135
	v_fma_f16 v138, 0x2b26, v138, v136
	v_fma_f16 v155, v157, 0x39e0, -v155
	v_fma_f16 v156, v158, 0x39e0, -v156
	;; [unrolled: 1-line block ×4, first 2 shown]
	v_fma_f16 v157, 0x3574, v46, v159
	v_fma_f16 v158, 0x3574, v49, v160
	v_fma_f16 v44, v44, 0x3b00, -v159
	v_fma_f16 v50, v50, 0x3b00, -v160
	v_fma_f16 v46, v46, 0xb574, -v161
	v_fma_f16 v49, v49, 0xb574, -v162
	v_add_f16_e64 v42, v42, v146
	v_add_f16_e64 v141, v141, v147
	v_fma_f16 v159, v165, 0x39e0, -v163
	v_fma_f16 v161, 0x3574, v51, v167
	v_fma_f16 v162, 0x3574, v130, v168
	v_fma_f16 v47, v47, 0x3b00, -v167
	v_fma_f16 v163, v132, 0x3b00, -v168
	;; [unrolled: 1-line block ×4, first 2 shown]
	v_add_f16_e64 v39, v39, v153
	v_add_f16_e64 v132, v148, v154
	v_fma_f16 v144, 0x2b26, v144, v142
	v_fma_f16 v142, v165, 0xb9e0, -v142
	v_fma_f16 v165, 0x3574, v52, v175
	v_fma_f16 v48, v48, 0x3b00, -v175
	v_fma_f16 v52, v52, 0xb574, -v177
	v_fma_f16 v139, 0xbcab, v139, v41
	v_fma_f16 v140, 0xbcab, v140, v43
	;; [unrolled: 1-line block ×3, first 2 shown]
	v_fma_f16 v160, v166, 0x39e0, -v164
	v_fma_f16 v143, v166, 0xb9e0, -v143
	v_fma_f16 v166, 0x3574, v133, v176
	v_fma_f16 v134, v134, 0x3b00, -v176
	v_fma_f16 v133, v133, 0xb574, -v178
	v_fma_f16 v148, 0x2b26, v151, v149
	v_fma_f16 v151, 0x2b26, v152, v150
	v_fma_f16 v152, v173, 0x39e0, -v171
	v_fma_f16 v164, v174, 0x39e0, -v172
	;; [unrolled: 1-line block ×4, first 2 shown]
	v_fmac_f16_e64 v157, 0x370e, v40
	v_fmac_f16_e64 v158, 0x370e, v53
	v_fmac_f16_e32 v44, 0x370e, v40
	v_fmac_f16_e32 v50, 0x370e, v53
	;; [unrolled: 1-line block ×4, first 2 shown]
	v_fma_f16 v40, 0xbcab, v146, v42
	v_fma_f16 v53, 0xbcab, v147, v141
	v_fmac_f16_e64 v161, 0x370e, v54
	v_fmac_f16_e64 v162, 0x370e, v55
	v_fmac_f16_e32 v47, 0x370e, v54
	v_fmac_f16_e64 v163, 0x370e, v55
	v_fmac_f16_e32 v51, 0x370e, v54
	v_fmac_f16_e64 v130, 0x370e, v55
	v_fma_f16 v54, 0xbcab, v153, v39
	v_fma_f16 v55, 0xbcab, v154, v132
	v_fmac_f16_e64 v165, 0x370e, v21
	v_fmac_f16_e32 v48, 0x370e, v21
	v_fmac_f16_e32 v52, 0x370e, v21
	v_pack_b32_f16 v146, v41, v43
	v_add_f16_e64 v21, v137, v139
	v_add_f16_e64 v41, v138, v140
	v_fmac_f16_e64 v166, 0x370e, v131
	v_fmac_f16_e64 v134, 0x370e, v131
	;; [unrolled: 1-line block ×3, first 2 shown]
	v_add_f16_e64 v131, v135, v139
	v_add_f16_e64 v135, v136, v140
	v_pack_b32_f16 v141, v42, v141
	v_add_f16_e64 v42, v155, v139
	v_add_f16_e64 v43, v156, v140
	;; [unrolled: 1-line block ×15, first 2 shown]
	v_sub_f16_e64 v148, v41, v157
	v_add_f16_e64 v149, v49, v131
	v_sub_f16_e64 v150, v135, v46
	v_sub_f16_e64 v151, v42, v50
	v_add_f16_e64 v152, v44, v43
	v_add_f16_e32 v50, v50, v42
	v_sub_f16_e64 v153, v43, v44
	v_sub_f16_e64 v49, v131, v49
	v_add_f16_e64 v46, v46, v135
	v_sub_f16_e64 v154, v21, v158
	v_add_f16_e64 v155, v157, v41
	v_add_f16_e64 v156, v162, v136
	v_sub_f16_e64 v157, v137, v161
	v_add_f16_e64 v158, v130, v40
	v_sub_f16_e64 v160, v138, v163
	v_add_f16_e64 v164, v47, v139
	v_add_f16_e64 v163, v163, v138
	v_sub_f16_e64 v47, v139, v47
	v_sub_f16_e64 v139, v40, v130
	;; [unrolled: 1-line block ×3, first 2 shown]
	v_add_f16_e64 v131, v161, v137
	v_add_f16_e64 v40, v166, v140
	v_sub_f16_e64 v138, v142, v165
	v_add_f16_e64 v41, v133, v54
	v_sub_f16_e64 v137, v55, v52
	v_sub_f16_e64 v42, v143, v134
	v_add_f16_e64 v136, v48, v144
	v_add_f16_e64 v43, v134, v143
	v_sub_f16_e64 v135, v144, v48
	v_sub_f16_e64 v44, v54, v133
	v_add_f16_e64 v134, v52, v55
	v_sub_f16_e64 v21, v140, v166
	v_add_f16_e64 v133, v165, v142
	v_sub_f16_e64 v159, v53, v51
	v_add_f16_e32 v51, v51, v53
	v_pack_b32_f16 v48, v145, v148
	v_pack_b32_f16 v52, v149, v150
	;; [unrolled: 1-line block ×19, first 2 shown]
	ds_store_b32 v57, v48 offset:156
	ds_store_b32 v57, v52 offset:312
	;; [unrolled: 1-line block ×6, first 2 shown]
	ds_store_2addr_b32 v57, v146, v141 offset1:13
	ds_store_b32 v57, v55 offset:364
	ds_store_b32 v57, v140 offset:520
	;; [unrolled: 1-line block ×7, first 2 shown]
	ds_store_2addr_b32 v129, v142, v143 offset0:65 offset1:104
	ds_store_2addr_b32 v129, v144, v145 offset0:143 offset1:182
	;; [unrolled: 1-line block ×3, first 2 shown]
	global_wb scope:SCOPE_SE
	s_wait_dscnt 0x0
	s_barrier_signal -1
	s_barrier_wait -1
	global_inv scope:SCOPE_SE
	s_clause 0xc
	global_load_b32 v56, v[12:13], off offset:1092
	global_load_b32 v141, v45, s[0:1] offset:84
	global_load_b32 v142, v45, s[0:1] offset:168
	;; [unrolled: 1-line block ×12, first 2 shown]
	ds_load_2addr_b32 v[46:47], v57 offset1:21
	ds_load_2addr_b32 v[48:49], v57 offset0:42 offset1:63
	ds_load_2addr_b32 v[50:51], v57 offset0:84 offset1:105
	;; [unrolled: 1-line block ×5, first 2 shown]
	ds_load_b32 v153, v57 offset:1008
	s_wait_dscnt 0x6
	v_lshrrev_b32_e32 v154, 16, v46
	v_lshrrev_b32_e32 v155, 16, v47
	s_wait_dscnt 0x5
	v_lshrrev_b32_e32 v156, 16, v48
	v_lshrrev_b32_e32 v157, 16, v49
	;; [unrolled: 3-line block ×6, first 2 shown]
	s_wait_dscnt 0x0
	v_lshrrev_b32_e32 v166, 16, v153
	s_wait_loadcnt 0xc
	v_lshrrev_b32_e32 v167, 16, v56
	s_wait_loadcnt 0xb
	;; [unrolled: 2-line block ×13, first 2 shown]
	v_lshrrev_b32_e32 v179, 16, v152
	v_mul_f16_e64 v180, v154, v167
	v_mul_f16_e64 v167, v46, v167
	v_mul_f16_e64 v181, v155, v168
	v_mul_f16_e64 v168, v47, v168
	v_mul_f16_e64 v182, v156, v169
	v_mul_f16_e64 v169, v48, v169
	v_mul_f16_e64 v183, v157, v170
	v_mul_f16_e64 v170, v49, v170
	v_mul_f16_e64 v184, v158, v171
	v_mul_f16_e64 v171, v50, v171
	v_mul_f16_e64 v185, v159, v172
	v_mul_f16_e64 v172, v51, v172
	v_mul_f16_e64 v186, v160, v173
	v_mul_f16_e64 v173, v52, v173
	v_mul_f16_e64 v187, v161, v174
	v_mul_f16_e64 v174, v53, v174
	v_mul_f16_e64 v188, v162, v175
	v_mul_f16_e64 v175, v54, v175
	v_mul_f16_e64 v189, v163, v176
	v_mul_f16_e64 v176, v55, v176
	v_mul_f16_e64 v190, v164, v177
	v_mul_f16_e64 v177, v139, v177
	v_mul_f16_e64 v191, v165, v178
	v_mul_f16_e64 v178, v140, v178
	v_mul_f16_e64 v192, v166, v179
	v_mul_f16_e64 v179, v153, v179
	v_fma_f16 v46, v46, v56, -v180
	v_fmac_f16_e64 v167, v154, v56
	v_fma_f16 v47, v47, v141, -v181
	v_fmac_f16_e64 v168, v155, v141
	;; [unrolled: 2-line block ×13, first 2 shown]
	v_pack_b32_f16 v46, v46, v167
	v_pack_b32_f16 v47, v47, v168
	;; [unrolled: 1-line block ×13, first 2 shown]
	ds_store_2addr_b32 v57, v46, v47 offset1:21
	ds_store_2addr_b32 v57, v48, v49 offset0:42 offset1:63
	ds_store_2addr_b32 v57, v50, v51 offset0:84 offset1:105
	;; [unrolled: 1-line block ×5, first 2 shown]
	ds_store_b32 v57, v140 offset:1008
	s_and_saveexec_b32 s2, vcc_lo
	s_cbranch_execz .LBB0_9
; %bb.8:
	s_wait_alu 0xfffe
	v_add_co_u32 v45, s0, s0, v45
	s_wait_alu 0xf1ff
	v_add_co_ci_u32_e64 v46, null, s1, 0, s0
	s_clause 0xc
	global_load_b32 v139, v[45:46], off offset:52
	global_load_b32 v140, v[45:46], off offset:136
	;; [unrolled: 1-line block ×13, first 2 shown]
	ds_load_2addr_b32 v[45:46], v57 offset0:13 offset1:34
	ds_load_2addr_b32 v[47:48], v57 offset0:55 offset1:76
	;; [unrolled: 1-line block ×6, first 2 shown]
	ds_load_b32 v152, v57 offset:1060
	s_wait_dscnt 0x6
	v_lshrrev_b32_e32 v153, 16, v45
	v_lshrrev_b32_e32 v154, 16, v46
	s_wait_dscnt 0x5
	v_lshrrev_b32_e32 v155, 16, v47
	v_lshrrev_b32_e32 v156, 16, v48
	;; [unrolled: 3-line block ×6, first 2 shown]
	s_wait_dscnt 0x0
	v_lshrrev_b32_e32 v165, 16, v152
	s_wait_loadcnt 0xc
	v_lshrrev_b32_e32 v166, 16, v139
	s_wait_loadcnt 0xb
	;; [unrolled: 2-line block ×13, first 2 shown]
	v_lshrrev_b32_e32 v178, 16, v151
	v_mul_f16_e64 v179, v153, v166
	v_mul_f16_e64 v166, v45, v166
	;; [unrolled: 1-line block ×26, first 2 shown]
	v_fma_f16 v45, v45, v139, -v179
	v_fmac_f16_e64 v166, v153, v139
	v_fma_f16 v46, v46, v140, -v180
	v_fmac_f16_e64 v167, v154, v140
	;; [unrolled: 2-line block ×13, first 2 shown]
	v_pack_b32_f16 v45, v45, v166
	v_pack_b32_f16 v46, v46, v167
	;; [unrolled: 1-line block ×13, first 2 shown]
	ds_store_2addr_b32 v57, v45, v46 offset0:13 offset1:34
	ds_store_2addr_b32 v57, v47, v48 offset0:55 offset1:76
	;; [unrolled: 1-line block ×6, first 2 shown]
	ds_store_b32 v57, v139 offset:1060
.LBB0_9:
	s_wait_alu 0xfffe
	s_or_b32 exec_lo, exec_lo, s2
	global_wb scope:SCOPE_SE
	s_wait_dscnt 0x0
	s_barrier_signal -1
	s_barrier_wait -1
	global_inv scope:SCOPE_SE
	ds_load_2addr_b32 v[45:46], v57 offset1:21
	ds_load_2addr_b32 v[53:54], v57 offset0:42 offset1:63
	ds_load_2addr_b32 v[49:50], v57 offset0:84 offset1:105
	;; [unrolled: 1-line block ×5, first 2 shown]
	ds_load_b32 v140, v57 offset:1008
	s_and_saveexec_b32 s0, vcc_lo
	s_cbranch_execz .LBB0_11
; %bb.10:
	v_lshl_add_u32 v15, v78, 2, v86
	ds_load_b32 v130, v57 offset:52
	ds_load_2addr_b32 v[39:40], v15 offset0:34 offset1:55
	ds_load_2addr_b32 v[41:42], v15 offset0:76 offset1:97
	;; [unrolled: 1-line block ×3, first 2 shown]
	v_add_nc_u32_e32 v16, 0x200, v15
	ds_load_2addr_b32 v[21:22], v15 offset0:160 offset1:181
	ds_load_2addr_b32 v[17:18], v15 offset0:202 offset1:223
	;; [unrolled: 1-line block ×3, first 2 shown]
	s_wait_dscnt 0x6
	v_lshrrev_b32_e32 v131, 16, v130
	s_wait_dscnt 0x5
	v_lshrrev_b32_e32 v132, 16, v39
	v_lshrrev_b32_e32 v138, 16, v40
	s_wait_dscnt 0x4
	v_lshrrev_b32_e32 v137, 16, v41
	;; [unrolled: 3-line block ×6, first 2 shown]
	v_lshrrev_b32_e32 v91, 16, v16
.LBB0_11:
	s_wait_alu 0xfffe
	s_or_b32 exec_lo, exec_lo, s0
	s_wait_dscnt 0x6
	v_pk_add_f16 v139, v45, v46
	s_wait_dscnt 0x0
	v_pk_add_f16 v141, v46, v140 neg_lo:[0,1] neg_hi:[0,1]
	v_pk_add_f16 v142, v140, v46
	v_lshrrev_b32_e32 v144, 16, v45
	v_add_nc_u32_e32 v129, 0x68, v129
	v_pk_add_f16 v139, v139, v53
	v_lshrrev_b32_e32 v145, 16, v141
	v_pk_mul_f16 v143, 0xb770, v141 op_sel_hi:[0,1]
	v_lshrrev_b32_e32 v146, 16, v142
	global_wb scope:SCOPE_SE
	v_pk_add_f16 v139, v139, v54
	v_mul_f16_e64 v151, 0xbb7b, v145
	v_pk_fma_f16 v46, 0x3b15, v142, v143 op_sel:[0,0,1] op_sel_hi:[0,1,0]
	v_mul_f16_e64 v148, 0x388b, v146
	v_mul_f16_e64 v150, 0x2fb7, v146
	v_pk_add_f16 v147, v139, v49
	v_fma_f16 v158, 0xb5ac, v142, v151
	v_fma_f16 v151, v142, 0xb5ac, -v151
	v_pk_fma_f16 v139, 0x3b15, v142, v143 op_sel:[0,0,1] op_sel_hi:[0,1,0] neg_lo:[0,0,1] neg_hi:[0,0,1]
	v_mul_f16_e64 v143, 0xba95, v145
	v_pk_add_f16 v147, v147, v50
	v_mul_f16_e64 v152, 0xb5ac, v146
	v_mul_f16_e64 v146, 0xb9fd, v146
	v_bfi_b32 v153, 0xffff, v46, v139
	v_mul_f16_e64 v149, 0xbbf1, v145
	v_pk_add_f16 v147, v147, v47
	v_fma_f16 v154, 0x388b, v142, v143
	v_fma_f16 v155, 0x3a95, v141, v148
	v_fma_f16 v143, v142, 0x388b, -v143
	v_fmac_f16_e64 v148, 0xba95, v141
	v_pk_add_f16 v147, v147, v48
	v_fma_f16 v157, 0x3bf1, v141, v150
	v_fmac_f16_e64 v150, 0xbbf1, v141
	v_fma_f16 v159, 0x3b7b, v141, v152
	v_pk_add_f16 v153, v45, v153
	v_pk_add_f16 v147, v147, v51
	v_fmac_f16_e64 v152, 0xbb7b, v141
	v_fma_f16 v161, 0x394e, v141, v146
	v_fmac_f16_e64 v146, 0xb94e, v141
	v_fma_f16 v156, 0x2fb7, v142, v149
	v_pk_add_f16 v147, v147, v52
	v_fma_f16 v149, v142, 0x2fb7, -v149
	v_add_f16_e64 v154, v45, v154
	v_add_f16_e64 v155, v144, v155
	;; [unrolled: 1-line block ×3, first 2 shown]
	v_pk_add_f16 v147, v147, v55
	v_add_f16_e64 v148, v144, v148
	v_add_f16_e64 v157, v144, v157
	;; [unrolled: 1-line block ×4, first 2 shown]
	v_pk_add_f16 v147, v147, v56
	v_add_f16_e64 v152, v144, v152
	v_add_f16_e64 v161, v144, v161
	;; [unrolled: 1-line block ×3, first 2 shown]
	v_mul_f16_e64 v145, 0xb94e, v145
	v_pk_add_f16 v140, v147, v140
	v_add_f16_e64 v147, v45, v151
	v_pk_add_f16 v151, v53, v56 neg_lo:[0,1] neg_hi:[0,1]
	v_pk_add_f16 v53, v56, v53
	v_add_f16_e64 v149, v45, v149
	v_add_f16_e64 v156, v45, v156
	;; [unrolled: 1-line block ×3, first 2 shown]
	v_pk_mul_f16 v56, 0xba95, v151 op_sel_hi:[0,1]
	v_lshrrev_b32_e32 v162, 16, v151
	v_lshrrev_b32_e32 v165, 16, v53
	v_fma_f16 v160, 0xb9fd, v142, v145
	v_fma_f16 v145, v142, 0xb9fd, -v145
	v_pk_fma_f16 v163, 0x388b, v53, v56 op_sel:[0,0,1] op_sel_hi:[0,1,0]
	v_pk_fma_f16 v56, 0x388b, v53, v56 op_sel:[0,0,1] op_sel_hi:[0,1,0] neg_lo:[0,0,1] neg_hi:[0,0,1]
	v_mul_f16_e64 v164, 0xbb7b, v162
	v_mul_f16_e64 v168, 0xb5ac, v165
	;; [unrolled: 1-line block ×3, first 2 shown]
	v_add_f16_e64 v160, v45, v160
	v_bfi_b32 v166, 0xffff, v163, v56
	v_fma_f16 v167, 0xb5ac, v53, v164
	v_fma_f16 v164, v53, 0xb5ac, -v164
	v_add_f16_e64 v145, v45, v145
	v_pk_mul_f16 v142, 0xbbc4, v142 op_sel_hi:[0,1]
	v_pk_add_f16 v146, v166, v153
	v_mul_f16_e64 v153, 0xb3a8, v162
	v_fma_f16 v166, 0x3b7b, v151, v168
	v_add_f16_e64 v154, v167, v154
	v_add_f16_e64 v143, v164, v143
	v_fma_f16 v164, 0x33a8, v151, v169
	v_fma_f16 v167, 0xbbc4, v53, v153
	v_add_f16_e64 v155, v166, v155
	v_mul_f16_e64 v166, 0x394e, v162
	v_fma_f16 v153, v53, 0xbbc4, -v153
	v_add_f16_e64 v157, v164, v157
	v_mul_f16_e64 v162, 0x3bf1, v162
	v_fmac_f16_e64 v168, 0xbb7b, v151
	v_fma_f16 v164, 0xb9fd, v53, v166
	v_add_f16_e64 v149, v153, v149
	v_fma_f16 v153, v53, 0xb9fd, -v166
	v_add_f16_e64 v156, v167, v156
	v_mul_f16_e64 v167, 0xb9fd, v165
	v_add_f16_e64 v158, v164, v158
	v_mul_f16_e64 v164, 0x2fb7, v165
	v_add_f16_e64 v147, v153, v147
	v_pk_add_f16 v153, v54, v55 neg_lo:[0,1] neg_hi:[0,1]
	v_fma_f16 v165, 0x2fb7, v53, v162
	v_add_f16_e64 v148, v168, v148
	v_fma_f16 v168, 0xb94e, v151, v167
	v_fmac_f16_e64 v167, 0x394e, v151
	v_pk_add_f16 v54, v55, v54
	v_add_f16_e64 v160, v165, v160
	v_lshrrev_b32_e32 v165, 16, v153
	v_add_f16_e64 v159, v168, v159
	v_add_f16_e64 v152, v167, v152
	v_fma_f16 v162, v53, 0x2fb7, -v162
	v_lshrrev_b32_e32 v168, 16, v54
	v_mul_f16_e64 v167, 0xb3a8, v165
	v_fma_f16 v166, 0xbbf1, v151, v164
	v_pk_mul_f16 v55, 0xbbf1, v153 op_sel_hi:[0,1]
	v_add_f16_e64 v145, v162, v145
	v_mul_f16_e64 v170, 0xbbc4, v168
	v_fma_f16 v162, 0xbbc4, v54, v167
	v_fmac_f16_e64 v169, 0xb3a8, v151
	v_add_f16_e64 v161, v166, v161
	v_pk_fma_f16 v166, 0x2fb7, v54, v55 op_sel:[0,0,1] op_sel_hi:[0,1,0]
	v_pk_fma_f16 v55, 0x2fb7, v54, v55 op_sel:[0,0,1] op_sel_hi:[0,1,0] neg_lo:[0,0,1] neg_hi:[0,0,1]
	v_fmac_f16_e64 v164, 0x3bf1, v151
	v_add_f16_e64 v154, v162, v154
	v_fma_f16 v162, 0x33a8, v153, v170
	v_fma_f16 v167, v54, 0xbbc4, -v167
	v_mul_f16_e64 v171, 0xb5ac, v168
	v_add_f16_e64 v150, v169, v150
	v_bfi_b32 v169, 0xffff, v166, v55
	v_add_f16_e64 v144, v164, v144
	v_mul_f16_e64 v164, 0x3b7b, v165
	v_add_f16_e64 v155, v162, v155
	v_add_f16_e64 v143, v167, v143
	v_fma_f16 v162, 0xbb7b, v153, v171
	v_mul_f16_e64 v167, 0x3770, v165
	v_pk_add_f16 v146, v169, v146
	v_fma_f16 v169, 0xb5ac, v54, v164
	v_fma_f16 v164, v54, 0xb5ac, -v164
	v_add_f16_e64 v157, v162, v157
	v_fma_f16 v162, 0x3b15, v54, v167
	v_fmac_f16_e64 v170, 0xb3a8, v153
	v_add_f16_e64 v156, v169, v156
	v_add_f16_e64 v149, v164, v149
	v_fma_f16 v164, v54, 0x3b15, -v167
	v_add_f16_e64 v158, v162, v158
	v_mul_f16_e64 v162, 0xba95, v165
	v_mul_f16_e64 v169, 0x3b15, v168
	v_add_f16_e64 v148, v170, v148
	v_add_f16_e64 v147, v164, v147
	v_pk_add_f16 v164, v49, v52 neg_lo:[0,1] neg_hi:[0,1]
	v_fma_f16 v167, 0x388b, v54, v162
	v_fma_f16 v170, 0xb770, v153, v169
	v_fmac_f16_e64 v169, 0x3770, v153
	v_pk_add_f16 v49, v52, v49
	v_mul_f16_e64 v165, 0x388b, v168
	v_add_f16_e64 v160, v167, v160
	v_lshrrev_b32_e32 v167, 16, v164
	v_add_f16_e64 v159, v170, v159
	v_add_f16_e64 v152, v169, v152
	v_fma_f16 v162, v54, 0x388b, -v162
	v_lshrrev_b32_e32 v170, 16, v49
	v_mul_f16_e64 v169, 0x394e, v167
	v_fma_f16 v168, 0x3a95, v153, v165
	v_pk_mul_f16 v52, 0xbb7b, v164 op_sel_hi:[0,1]
	v_add_f16_e64 v145, v162, v145
	v_mul_f16_e64 v172, 0xb9fd, v170
	v_fma_f16 v162, 0xb9fd, v49, v169
	v_fmac_f16_e64 v171, 0x3b7b, v153
	v_add_f16_e64 v161, v168, v161
	v_pk_fma_f16 v168, 0xb5ac, v49, v52 op_sel:[0,0,1] op_sel_hi:[0,1,0]
	v_pk_fma_f16 v52, 0xb5ac, v49, v52 op_sel:[0,0,1] op_sel_hi:[0,1,0] neg_lo:[0,0,1] neg_hi:[0,0,1]
	v_fmac_f16_e64 v165, 0xba95, v153
	v_add_f16_e64 v154, v162, v154
	v_fma_f16 v162, 0xb94e, v164, v172
	v_fma_f16 v169, v49, 0xb9fd, -v169
	v_mul_f16_e64 v173, 0x3b15, v170
	v_add_f16_e64 v150, v171, v150
	v_bfi_b32 v171, 0xffff, v168, v52
	v_add_f16_e64 v144, v165, v144
	v_mul_f16_e64 v165, 0x3770, v167
	v_add_f16_e64 v155, v162, v155
	v_add_f16_e64 v143, v169, v143
	v_fma_f16 v162, 0xb770, v164, v173
	v_mul_f16_e64 v169, 0xbbf1, v167
	v_pk_add_f16 v146, v171, v146
	v_fma_f16 v171, 0x3b15, v49, v165
	v_fma_f16 v165, v49, 0x3b15, -v165
	v_add_f16_e64 v157, v162, v157
	v_fma_f16 v162, 0x2fb7, v49, v169
	v_fmac_f16_e64 v172, 0x394e, v164
	v_add_f16_e64 v156, v171, v156
	v_add_f16_e64 v149, v165, v149
	v_fma_f16 v165, v49, 0x2fb7, -v169
	v_add_f16_e64 v158, v162, v158
	v_mul_f16_e64 v162, 0x33a8, v167
	v_mul_f16_e64 v171, 0x2fb7, v170
	v_add_f16_e64 v148, v172, v148
	v_add_f16_e64 v147, v165, v147
	v_pk_add_f16 v165, v50, v51 neg_lo:[0,1] neg_hi:[0,1]
	v_fma_f16 v169, 0xbbc4, v49, v162
	v_fma_f16 v172, 0x3bf1, v164, v171
	v_mul_f16_e64 v167, 0xbbc4, v170
	v_fmac_f16_e64 v171, 0xbbf1, v164
	v_pk_add_f16 v50, v51, v50
	v_add_f16_e64 v160, v169, v160
	v_lshrrev_b32_e32 v169, 16, v165
	v_add_f16_e64 v159, v172, v159
	v_fma_f16 v170, 0xb3a8, v164, v167
	v_pk_mul_f16 v51, 0xb94e, v165 op_sel_hi:[0,1]
	v_add_f16_e64 v152, v171, v152
	v_fma_f16 v162, v49, 0xbbc4, -v162
	v_mul_f16_e64 v171, 0x3bf1, v169
	v_lshrrev_b32_e32 v172, 16, v50
	v_fmac_f16_e64 v173, 0x3770, v164
	v_add_f16_e64 v161, v170, v161
	v_pk_fma_f16 v170, 0xb9fd, v50, v51 op_sel:[0,0,1] op_sel_hi:[0,1,0]
	v_pk_fma_f16 v51, 0xb9fd, v50, v51 op_sel:[0,0,1] op_sel_hi:[0,1,0] neg_lo:[0,0,1] neg_hi:[0,0,1]
	v_fmac_f16_e64 v167, 0x33a8, v164
	v_add_f16_e64 v145, v162, v145
	v_fma_f16 v162, 0x2fb7, v50, v171
	v_mul_f16_e64 v174, 0x2fb7, v172
	v_add_f16_e64 v150, v173, v150
	v_bfi_b32 v173, 0xffff, v170, v51
	v_add_f16_e64 v144, v167, v144
	v_mul_f16_e64 v167, 0xba95, v169
	v_add_f16_e64 v154, v162, v154
	v_fma_f16 v162, 0xbbf1, v165, v174
	v_fma_f16 v171, v50, 0x2fb7, -v171
	v_mul_f16_e64 v175, 0x388b, v172
	v_pk_add_f16 v146, v173, v146
	v_fma_f16 v173, 0x388b, v50, v167
	v_add_f16_e64 v155, v162, v155
	v_add_f16_e64 v143, v171, v143
	v_fma_f16 v162, 0x3a95, v165, v175
	v_mul_f16_e64 v171, 0x33a8, v169
	v_fma_f16 v167, v50, 0x388b, -v167
	v_fmac_f16_e64 v174, 0x3bf1, v165
	v_add_f16_e64 v156, v173, v156
	v_add_f16_e64 v157, v162, v157
	v_fma_f16 v162, 0xbbc4, v50, v171
	v_add_f16_e64 v149, v167, v149
	v_fma_f16 v167, v50, 0xbbc4, -v171
	v_mul_f16_e64 v173, 0xbbc4, v172
	v_add_f16_e64 v148, v174, v148
	v_add_f16_e64 v158, v162, v158
	v_mul_f16_e64 v162, 0x3770, v169
	v_mul_f16_e64 v169, 0x3b15, v172
	v_add_f16_e64 v147, v167, v147
	v_pk_add_f16 v167, v47, v48 neg_lo:[0,1] neg_hi:[0,1]
	v_fma_f16 v174, 0xb3a8, v165, v173
	v_fmac_f16_e64 v173, 0x33a8, v165
	v_fma_f16 v171, 0x3b15, v50, v162
	v_fma_f16 v172, 0xb770, v165, v169
	v_pk_add_f16 v47, v48, v47
	v_pk_mul_f16 v48, 0xb3a8, v167 op_sel_hi:[0,1]
	v_fmac_f16_e64 v175, 0xba95, v165
	v_add_f16_e64 v152, v173, v152
	v_add_f16_e64 v160, v171, v160
	v_add_f16_e64 v161, v172, v161
	v_lshrrev_b32_e32 v171, 16, v167
	v_pk_fma_f16 v172, 0xbbc4, v47, v48 op_sel:[0,0,1] op_sel_hi:[0,1,0]
	v_pk_fma_f16 v48, 0xbbc4, v47, v48 op_sel:[0,0,1] op_sel_hi:[0,1,0] neg_lo:[0,0,1] neg_hi:[0,0,1]
	v_fma_f16 v162, v50, 0x3b15, -v162
	v_lshrrev_b32_e32 v173, 16, v47
	v_add_f16_e64 v150, v175, v150
	v_add_f16_e64 v159, v174, v159
	v_mul_f16_e64 v174, 0x3770, v171
	v_fmac_f16_e64 v169, 0x3770, v165
	v_bfi_b32 v175, 0xffff, v172, v48
	v_add_f16_e64 v145, v162, v145
	v_mul_f16_e64 v162, 0x3b15, v173
	v_fma_f16 v176, 0x3b15, v47, v174
	v_add_f16_e64 v144, v169, v144
	v_pk_add_f16 v146, v175, v146
	v_mul_f16_e64 v169, 0xb94e, v171
	v_fma_f16 v175, 0xb770, v167, v162
	v_fmac_f16_e64 v162, 0x3770, v167
	v_add_f16_e64 v154, v176, v154
	v_fma_f16 v174, v47, 0x3b15, -v174
	v_fma_f16 v176, 0xb9fd, v47, v169
	v_fma_f16 v169, v47, 0xb9fd, -v169
	v_add_f16_e64 v148, v162, v148
	v_mul_f16_e64 v162, 0x3a95, v171
	v_mul_f16_e64 v171, 0xbb7b, v171
	v_add_f16_e64 v156, v176, v156
	v_mul_f16_e64 v176, 0x388b, v173
	v_add_f16_e64 v155, v175, v155
	v_fma_f16 v177, 0x388b, v47, v162
	v_fma_f16 v162, v47, 0x388b, -v162
	v_mul_f16_e64 v175, 0xb9fd, v173
	v_add_f16_e64 v149, v169, v149
	v_fma_f16 v169, 0xba95, v167, v176
	v_add_f16_e64 v143, v174, v143
	v_add_f16_e64 v147, v162, v147
	v_fma_f16 v162, 0xb5ac, v47, v171
	v_fma_f16 v174, 0x394e, v167, v175
	v_add_f16_e64 v159, v169, v159
	v_mul_f16_e64 v169, 0xb5ac, v173
	v_fma_f16 v171, v47, 0xb5ac, -v171
	v_add_f16_e64 v160, v162, v160
	v_pk_fma_f16 v162, 0xb3a8, v141, v142 op_sel:[0,0,1] op_sel_hi:[0,1,0]
	v_pk_mul_f16 v53, 0x3b15, v53 op_sel_hi:[0,1]
	v_add_f16_e64 v157, v174, v157
	v_fma_f16 v173, 0x3b7b, v167, v169
	v_fmac_f16_e64 v169, 0xbb7b, v167
	v_add_f16_e64 v145, v171, v145
	v_alignbit_b32 v171, s0, v162, 16
	v_pk_fma_f16 v141, 0xb3a8, v141, v142 op_sel:[0,0,1] op_sel_hi:[0,1,0] neg_lo:[0,1,0] neg_hi:[0,1,0]
	v_pk_fma_f16 v142, 0x3770, v151, v53 op_sel:[0,0,1] op_sel_hi:[0,1,0]
	v_pk_mul_f16 v54, 0xb9fd, v54 op_sel_hi:[0,1]
	v_add_f16_e64 v144, v169, v144
	v_pack_b32_f16 v156, v156, v157
	v_pk_add_f16 v157, v45, v171
	v_alignbit_b32 v169, s0, v45, 16
	v_pk_add_f16 v141, v45, v141 op_sel:[1,0] op_sel_hi:[0,1]
	v_alignbit_b32 v171, s0, v142, 16
	v_pk_fma_f16 v53, 0x3770, v151, v53 op_sel:[0,0,1] op_sel_hi:[0,1,0] neg_lo:[0,1,0] neg_hi:[0,1,0]
	v_pk_fma_f16 v151, 0xb94e, v153, v54 op_sel:[0,0,1] op_sel_hi:[0,1,0]
	v_pk_mul_f16 v49, 0x388b, v49 op_sel_hi:[0,1]
	v_pk_add_f16 v162, v169, v162
	v_pk_add_f16 v157, v171, v157
	;; [unrolled: 1-line block ×3, first 2 shown]
	v_alignbit_b32 v141, s0, v151, 16
	v_pk_fma_f16 v54, 0xb94e, v153, v54 op_sel:[0,0,1] op_sel_hi:[0,1,0] neg_lo:[0,1,0] neg_hi:[0,1,0]
	v_pk_fma_f16 v153, 0x3a95, v164, v49 op_sel:[0,0,1] op_sel_hi:[0,1,0]
	v_pk_mul_f16 v50, 0xb5ac, v50 op_sel_hi:[0,1]
	v_bfi_b32 v46, 0xffff, v139, v46
	v_pk_add_f16 v142, v142, v162
	v_pk_add_f16 v141, v141, v157
	;; [unrolled: 1-line block ×3, first 2 shown]
	v_alignbit_b32 v54, s0, v153, 16
	v_pk_fma_f16 v49, 0x3a95, v164, v49 op_sel:[0,0,1] op_sel_hi:[0,1,0] neg_lo:[0,1,0] neg_hi:[0,1,0]
	v_pk_fma_f16 v157, 0xbb7b, v165, v50 op_sel:[0,0,1] op_sel_hi:[0,1,0]
	v_pk_add_f16 v45, v45, v46
	v_bfi_b32 v46, 0xffff, v56, v163
	v_pk_add_f16 v142, v151, v142
	v_pk_add_f16 v54, v54, v141
	;; [unrolled: 1-line block ×3, first 2 shown]
	v_alignbit_b32 v53, s0, v157, 16
	v_pk_mul_f16 v47, 0x2fb7, v47 op_sel_hi:[0,1]
	v_pk_add_f16 v45, v46, v45
	v_bfi_b32 v46, 0xffff, v55, v166
	v_pk_add_f16 v56, v153, v142
	v_pk_fma_f16 v50, 0xbb7b, v165, v50 op_sel:[0,0,1] op_sel_hi:[0,1,0] neg_lo:[0,1,0] neg_hi:[0,1,0]
	v_pk_add_f16 v53, v53, v54
	v_pk_fma_f16 v54, 0x3bf1, v167, v47 op_sel:[0,0,1] op_sel_hi:[0,1,0]
	v_pk_add_f16 v45, v46, v45
	v_bfi_b32 v46, 0xffff, v52, v168
	v_pk_add_f16 v49, v50, v49
	v_pk_add_f16 v50, v157, v56
	v_alignbit_b32 v55, s0, v54, 16
	v_pk_fma_f16 v47, 0x3bf1, v167, v47 op_sel:[0,0,1] op_sel_hi:[0,1,0] neg_lo:[0,1,0] neg_hi:[0,1,0]
	v_fmac_f16_e64 v176, 0x3a95, v167
	v_fmac_f16_e64 v175, 0xb94e, v167
	v_pk_add_f16 v45, v46, v45
	v_bfi_b32 v46, 0xffff, v51, v170
	v_add_f16_e64 v158, v177, v158
	v_add_f16_e64 v161, v173, v161
	v_pk_add_f16 v53, v55, v53
	v_pk_add_f16 v47, v47, v49
	v_pk_add_f16 v49, v54, v50
	v_add_f16_e64 v152, v176, v152
	v_add_f16_e64 v150, v175, v150
	v_pk_add_f16 v45, v46, v45
	v_bfi_b32 v46, 0xffff, v48, v172
	v_pack_b32_f16 v52, v154, v155
	v_pack_b32_f16 v50, v160, v161
	;; [unrolled: 1-line block ×3, first 2 shown]
	v_alignbit_b32 v49, v49, v47, 16
	v_pack_b32_f16 v47, v53, v47
	v_pack_b32_f16 v48, v147, v152
	;; [unrolled: 1-line block ×3, first 2 shown]
	s_barrier_signal -1
	s_barrier_wait -1
	global_inv scope:SCOPE_SE
	v_pack_b32_f16 v54, v143, v148
	v_pack_b32_f16 v55, v149, v150
	v_pk_add_f16 v45, v46, v45
	ds_store_2addr_b32 v88, v140, v146 offset1:1
	ds_store_2addr_b32 v88, v52, v156 offset0:2 offset1:3
	ds_store_2addr_b32 v88, v51, v50 offset0:4 offset1:5
	;; [unrolled: 1-line block ×5, first 2 shown]
	ds_store_b32 v88, v45 offset:48
	s_and_saveexec_b32 s0, vcc_lo
	s_cbranch_execz .LBB0_13
; %bb.12:
	v_add_f16_e64 v142, v91, v132
	v_sub_f16_e32 v49, v39, v16
	v_add_f16_e64 v143, v89, v138
	v_sub_f16_e32 v46, v40, v15
	v_add_f16_e64 v144, v90, v137
	v_mul_f16_e64 v145, 0xbbc4, v142
	v_sub_f16_e32 v47, v41, v18
	v_mul_f16_e64 v147, 0x3b15, v143
	v_add_f16_e64 v146, v92, v136
	v_mul_f16_e64 v149, 0xb9fd, v144
	v_fma_f16 v50, 0x33a8, v49, v145
	v_sub_f16_e64 v150, v132, v91
	v_fma_f16 v51, 0xb770, v46, v147
	v_sub_f16_e32 v45, v42, v17
	v_mul_f16_e64 v151, 0x388b, v146
	v_add_f16_e64 v52, v131, v50
	v_add_f16_e32 v50, v16, v39
	v_fma_f16 v53, 0x394e, v47, v149
	v_mul_f16_e64 v152, 0xb3a8, v150
	v_sub_f16_e64 v153, v138, v89
	v_add_f16_e32 v52, v51, v52
	v_add_f16_e32 v51, v15, v40
	v_fma_f16 v54, 0xba95, v45, v151
	v_sub_f16_e64 v155, v137, v90
	v_mul_f16_e64 v154, 0x3770, v153
	v_add_f16_e32 v52, v53, v52
	v_fma_f16 v53, 0xbbc4, v50, v152
	v_sub_f16_e64 v158, v136, v92
	v_mul_f16_e64 v157, 0xb94e, v155
	v_fma_f16 v55, 0x3b15, v51, v154
	v_add_f16_e32 v54, v54, v52
	v_add_f16_e64 v53, v130, v53
	v_add_f16_e32 v52, v18, v41
	v_mul_f16_e64 v160, 0x3a95, v158
	v_sub_f16_e64 v162, v135, v93
	v_add_f16_e64 v148, v93, v135
	v_add_f16_e32 v56, v55, v53
	v_fma_f16 v139, 0xb9fd, v52, v157
	v_add_f16_e32 v55, v17, v42
	v_mul_f16_e64 v163, 0xbb7b, v162
	v_mul_f16_e64 v164, 0xb9fd, v142
	v_sub_f16_e32 v48, v43, v22
	v_add_f16_e64 v139, v139, v56
	v_fma_f16 v140, 0x388b, v55, v160
	v_add_f16_e32 v56, v22, v43
	v_mul_f16_e64 v156, 0xb5ac, v148
	v_add_f16_e64 v159, v133, v134
	v_fma_f16 v141, 0x394e, v49, v164
	v_add_f16_e64 v139, v140, v139
	v_fma_f16 v140, 0xb5ac, v56, v163
	v_mul_f16_e64 v165, 0x2fb7, v143
	v_fma_f16 v88, 0x3b7b, v48, v156
	v_mul_f16_e64 v161, 0x2fb7, v159
	v_sub_f16_e32 v53, v44, v21
	v_add_f16_e64 v139, v140, v139
	v_add_f16_e64 v140, v131, v141
	v_fma_f16 v141, 0xbbf1, v46, v165
	v_mul_f16_e64 v167, 0x388b, v144
	v_add_f16_e32 v54, v88, v54
	v_fma_f16 v88, 0xbbf1, v53, v161
	v_sub_f16_e64 v166, v134, v133
	v_mul_f16_e64 v169, 0xb94e, v150
	v_add_f16_e64 v140, v141, v140
	v_fma_f16 v141, 0x3a95, v47, v167
	v_mul_f16_e64 v170, 0xbbc4, v146
	v_add_f16_e32 v54, v88, v54
	v_add_f16_e32 v88, v21, v44
	v_mul_f16_e64 v168, 0x3bf1, v166
	v_fma_f16 v172, 0xb9fd, v50, v169
	v_mul_f16_e64 v173, 0x3bf1, v153
	v_add_f16_e64 v140, v141, v140
	v_fma_f16 v141, 0xb3a8, v45, v170
	v_mul_f16_e64 v174, 0x3b15, v148
	v_fma_f16 v171, 0x2fb7, v88, v168
	v_add_f16_e64 v172, v130, v172
	v_fma_f16 v175, 0x2fb7, v51, v173
	v_mul_f16_e64 v176, 0xba95, v155
	v_add_f16_e64 v140, v141, v140
	v_fma_f16 v141, 0xb770, v48, v174
	v_mul_f16_e64 v177, 0xb5ac, v159
	v_mul_f16_e64 v178, 0xb5ac, v142
	v_add_f16_e64 v139, v171, v139
	v_add_f16_e64 v171, v175, v172
	v_fma_f16 v172, 0x388b, v52, v176
	v_mul_f16_e64 v175, 0x33a8, v158
	v_add_f16_e64 v140, v141, v140
	v_fma_f16 v179, 0x3b7b, v53, v177
	v_fma_f16 v180, 0x3b7b, v49, v178
	v_mul_f16_e64 v181, 0xb9fd, v143
	v_add_f16_e64 v141, v172, v171
	v_fma_f16 v171, 0xbbc4, v55, v175
	v_mul_f16_e64 v172, 0x3770, v162
	v_add_f16_e64 v140, v179, v140
	v_add_f16_e64 v179, v131, v180
	v_fma_f16 v180, 0xb94e, v46, v181
	v_mul_f16_e64 v182, 0x3b15, v144
	v_add_f16_e64 v141, v171, v141
	v_fma_f16 v171, 0x3b15, v56, v172
	v_mul_f16_e64 v183, 0xbb7b, v150
	;; [unrolled: 3-line block ×3, first 2 shown]
	v_add_f16_e64 v141, v171, v141
	v_mul_f16_e64 v171, 0xbb7b, v166
	v_fma_f16 v186, 0xb5ac, v50, v183
	v_mul_f16_e64 v187, 0x394e, v153
	v_add_f16_e64 v179, v180, v179
	v_fma_f16 v180, 0x3bf1, v45, v184
	v_mul_f16_e64 v188, 0xbbc4, v148
	v_fma_f16 v185, 0xb5ac, v88, v171
	v_add_f16_e64 v186, v130, v186
	v_fma_f16 v189, 0xb9fd, v51, v187
	v_mul_f16_e64 v190, 0x3770, v155
	v_add_f16_e64 v179, v180, v179
	v_fma_f16 v180, 0xb3a8, v48, v188
	v_add_f16_e64 v141, v185, v141
	v_add_f16_e64 v185, v189, v186
	v_fma_f16 v186, 0x3b15, v52, v190
	v_mul_f16_e64 v189, 0xbbf1, v158
	v_add_f16_e64 v179, v180, v179
	v_mul_f16_e64 v180, 0x388b, v159
	v_mul_f16_e64 v191, 0x2fb7, v142
	v_add_f16_e64 v185, v186, v185
	v_fma_f16 v186, 0x2fb7, v55, v189
	v_mul_f16_e64 v192, 0x33a8, v162
	v_fma_f16 v193, 0xba95, v53, v180
	v_fma_f16 v194, 0x3bf1, v49, v191
	v_mul_f16_e64 v195, 0xbbc4, v143
	v_add_f16_e64 v185, v186, v185
	v_fma_f16 v186, 0xbbc4, v56, v192
	v_add_f16_e64 v179, v193, v179
	v_add_f16_e64 v193, v131, v194
	v_fma_f16 v194, 0x33a8, v46, v195
	v_mul_f16_e64 v196, 0xb5ac, v144
	v_mul_f16_e64 v197, 0xbbf1, v150
	v_add_f16_e64 v185, v186, v185
	v_mul_f16_e64 v186, 0x3a95, v166
	v_add_f16_e64 v193, v194, v193
	v_fma_f16 v194, 0xbb7b, v47, v196
	v_mul_f16_e64 v198, 0x3b15, v146
	v_fma_f16 v200, 0x2fb7, v50, v197
	v_mul_f16_e64 v201, 0xb3a8, v153
	v_fma_f16 v199, 0x388b, v88, v186
	v_add_f16_e64 v193, v194, v193
	v_fma_f16 v194, 0xb770, v45, v198
	v_mul_f16_e64 v202, 0x388b, v148
	v_add_f16_e64 v200, v130, v200
	v_fma_f16 v203, 0xbbc4, v51, v201
	v_mul_f16_e64 v204, 0x3b7b, v155
	v_add_f16_e64 v193, v194, v193
	v_fma_f16 v194, 0x3a95, v48, v202
	v_add_f16_e64 v185, v199, v185
	v_add_f16_e64 v199, v203, v200
	v_fma_f16 v200, 0xb5ac, v52, v204
	v_mul_f16_e64 v203, 0x3770, v158
	v_add_f16_e64 v193, v194, v193
	v_mul_f16_e64 v194, 0x388b, v142
	v_mul_f16_e64 v206, 0xba95, v162
	v_add_f16_e64 v199, v200, v199
	v_fma_f16 v200, 0x3b15, v55, v203
	v_mul_f16_e64 v205, 0xb9fd, v159
	v_fma_f16 v207, 0x3a95, v49, v194
	v_mul_f16_e64 v208, 0xb5ac, v143
	v_mul_f16_e64 v211, 0xbbc4, v144
	v_add_f16_e64 v199, v200, v199
	v_fma_f16 v200, 0x388b, v56, v206
	v_fma_f16 v209, 0x394e, v53, v205
	v_add_f16_e64 v207, v131, v207
	v_fma_f16 v210, 0x3b7b, v46, v208
	v_mul_f16_e64 v214, 0xbb7b, v153
	v_add_f16_e64 v199, v200, v199
	v_mul_f16_e64 v200, 0xba95, v150
	v_add_f16_e64 v193, v209, v193
	v_add_f16_e64 v207, v210, v207
	v_fma_f16 v209, 0x33a8, v47, v211
	v_mul_f16_e64 v210, 0xb9fd, v146
	v_fma_f16 v213, 0x388b, v50, v200
	v_mul_f16_e64 v215, 0x2fb7, v148
	v_fma_f16 v216, 0xb5ac, v51, v214
	v_add_f16_e64 v207, v209, v207
	v_fma_f16 v209, 0xb94e, v45, v210
	v_add_f16_e64 v213, v130, v213
	v_mul_f16_e64 v217, 0xb3a8, v155
	v_mul_f16_e64 v219, 0x394e, v158
	;; [unrolled: 1-line block ×3, first 2 shown]
	v_add_f16_e64 v207, v209, v207
	v_fma_f16 v209, 0xbbf1, v48, v215
	v_add_f16_e64 v213, v216, v213
	v_fma_f16 v216, 0xbbc4, v52, v217
	v_fma_f16 v220, 0x3770, v49, v142
	v_mul_f16_e64 v143, 0x388b, v143
	v_add_f16_e64 v207, v209, v207
	v_add_f16_e64 v39, v39, v130
	;; [unrolled: 1-line block ×3, first 2 shown]
	v_fma_f16 v213, 0xb9fd, v55, v219
	v_mul_f16_e64 v216, 0x3bf1, v162
	v_mul_f16_e64 v221, 0x3770, v166
	v_add_f16_e64 v220, v131, v220
	v_fma_f16 v222, 0x3a95, v46, v143
	v_add_f16_e64 v209, v213, v209
	v_fma_f16 v213, 0x2fb7, v56, v216
	v_mul_f16_e64 v144, 0x2fb7, v144
	v_add_f16_e32 v39, v40, v39
	v_add_f16_e64 v40, v132, v131
	v_add_f16_e64 v220, v222, v220
	v_add_f16_e64 v209, v213, v209
	v_fma_f16 v213, 0x3b15, v88, v221
	v_fma_f16 v222, 0x3bf1, v47, v144
	v_mul_f16_e64 v146, 0xb5ac, v146
	v_add_f16_e32 v39, v41, v39
	v_add_f16_e64 v40, v138, v40
	v_add_f16_e64 v209, v213, v209
	;; [unrolled: 1-line block ×3, first 2 shown]
	v_fma_f16 v132, 0x3b7b, v45, v146
	v_mul_f16_e64 v148, 0xb9fd, v148
	v_mul_f16_e64 v150, 0xb770, v150
	v_add_f16_e32 v39, v42, v39
	v_add_f16_e64 v40, v137, v40
	v_add_f16_e64 v41, v132, v213
	v_fma_f16 v132, 0x394e, v48, v148
	v_fma_f16 v138, 0x3b15, v50, v150
	v_mul_f16_e64 v42, 0xba95, v153
	v_add_f16_e32 v39, v43, v39
	v_add_f16_e64 v40, v136, v40
	v_add_f16_e64 v41, v132, v41
	;; [unrolled: 1-line block ×3, first 2 shown]
	v_fmamk_f16 v43, v51, 0x388b, v42
	v_mul_f16_e64 v136, 0xbbf1, v155
	v_mul_f16_e64 v137, 0xbbc4, v159
	v_add_f16_e32 v39, v44, v39
	v_add_f16_e64 v40, v135, v40
	v_add_f16_e64 v43, v43, v132
	v_fma_f16 v44, 0x2fb7, v52, v136
	v_mul_f16_e64 v132, 0xbb7b, v158
	v_add_f16_e32 v21, v21, v39
	v_add_f16_e64 v39, v134, v40
	v_fma_f16 v40, 0x33a8, v53, v137
	v_add_f16_e32 v43, v44, v43
	v_fma_f16 v44, 0xb5ac, v55, v132
	v_add_f16_e32 v21, v22, v21
	v_add_f16_e64 v22, v133, v39
	v_add_f16_e32 v39, v40, v41
	v_mul_f16_e64 v40, 0xb94e, v162
	v_add_f16_e32 v41, v44, v43
	v_add_f16_e32 v17, v17, v21
	;; [unrolled: 1-line block ×3, first 2 shown]
	v_fmac_f16_e64 v145, 0xb3a8, v49
	v_fmamk_f16 v22, v56, 0xb9fd, v40
	v_mul_f16_e64 v43, 0xb3a8, v166
	v_add_f16_e32 v17, v18, v17
	v_add_f16_e32 v18, v92, v21
	v_add_f16_e64 v21, v131, v145
	v_fmac_f16_e64 v147, 0x3770, v46
	v_add_f16_e32 v22, v22, v41
	v_fmamk_f16 v41, v88, 0xbbc4, v43
	v_add_f16_e32 v15, v15, v17
	v_add_f16_e32 v17, v90, v18
	v_add_f16_e64 v18, v147, v21
	v_fmac_f16_e64 v149, 0xb94e, v47
	v_add_f16_e32 v21, v41, v22
	v_fma_f16 v22, v50, 0xbbc4, -v152
	v_add_f16_e32 v15, v16, v15
	v_add_f16_e32 v16, v89, v17
	v_add_f16_e64 v17, v149, v18
	v_fma_f16 v44, v50, 0xb9fd, -v169
	v_add_f16_e64 v18, v130, v22
	v_fma_f16 v22, v51, 0x3b15, -v154
	v_fma_f16 v89, v51, 0x2fb7, -v173
	v_fmac_f16_e64 v178, 0xbb7b, v49
	v_add_f16_e64 v44, v130, v44
	v_fmac_f16_e64 v181, 0x394e, v46
	v_add_f16_e32 v18, v22, v18
	v_fma_f16 v22, v52, 0xb9fd, -v157
	v_add_f16_e64 v90, v131, v178
	v_add_f16_e32 v44, v89, v44
	v_fma_f16 v89, v52, 0x388b, -v176
	v_fmac_f16_e64 v191, 0xbbf1, v49
	v_add_f16_e32 v18, v22, v18
	v_fma_f16 v22, v55, 0x388b, -v160
	v_add_f16_e32 v16, v91, v16
	v_fma_f16 v91, v88, 0xb5ac, -v171
	v_add_f16_e64 v92, v131, v191
	v_fmac_f16_e64 v195, 0xb3a8, v46
	v_add_f16_e32 v18, v22, v18
	v_fma_f16 v22, v56, 0xb5ac, -v163
	v_fma_f16 v133, v88, 0x388b, -v186
	v_fmac_f16_e64 v164, 0xb94e, v49
	v_fmac_f16_e64 v194, 0xba95, v49
	v_fmac_f16_e64 v142, 0xb770, v49
	v_add_f16_e32 v18, v22, v18
	v_fma_f16 v22, v88, 0x2fb7, -v168
	v_fma_f16 v49, v50, 0x3b15, -v150
	v_add_f16_e64 v41, v131, v164
	v_fmac_f16_e64 v165, 0x3bf1, v46
	v_fma_f16 v93, v51, 0xbbc4, -v201
	v_add_f16_e32 v18, v22, v18
	v_add_f16_e32 v22, v89, v44
	v_fma_f16 v44, v55, 0xbbc4, -v175
	v_add_f16_e64 v89, v181, v90
	v_fma_f16 v90, v50, 0xb5ac, -v183
	v_fmac_f16_e64 v208, 0xbb7b, v46
	v_fmac_f16_e64 v143, 0xba95, v46
	v_add_f16_e32 v22, v44, v22
	v_fma_f16 v44, v56, 0x3b15, -v172
	v_add_f16_e64 v46, v130, v49
	v_fma_f16 v42, v51, 0x388b, -v42
	v_mul_f16_e64 v212, 0xb94e, v166
	v_add_f16_e64 v41, v165, v41
	v_add_f16_e32 v22, v44, v22
	v_add_f16_e64 v44, v130, v90
	v_fma_f16 v90, v51, 0xb9fd, -v187
	v_fmac_f16_e64 v167, 0xba95, v47
	v_fmac_f16_e64 v182, 0x3770, v47
	v_add_f16_e32 v22, v91, v22
	v_add_f16_e64 v91, v195, v92
	v_add_f16_e32 v44, v90, v44
	v_fma_f16 v90, v52, 0x3b15, -v190
	v_fma_f16 v92, v56, 0xbbc4, -v192
	v_fmac_f16_e64 v196, 0x3b7b, v47
	v_fmac_f16_e64 v211, 0xb3a8, v47
	;; [unrolled: 1-line block ×3, first 2 shown]
	v_add_f16_e32 v44, v90, v44
	v_fma_f16 v90, v55, 0x2fb7, -v189
	v_add_f16_e32 v42, v42, v46
	v_fma_f16 v46, v52, 0x2fb7, -v136
	v_fma_f16 v218, 0xb9fd, v88, v212
	v_fmac_f16_e64 v151, 0x3a95, v45
	v_add_f16_e32 v44, v90, v44
	v_fma_f16 v90, v50, 0x2fb7, -v197
	v_add_f16_e64 v41, v167, v41
	v_fmac_f16_e64 v170, 0x33a8, v45
	v_add_f16_e64 v89, v182, v89
	v_add_f16_e32 v44, v92, v44
	v_add_f16_e64 v90, v130, v90
	v_add_f16_e64 v92, v131, v194
	;; [unrolled: 1-line block ×3, first 2 shown]
	v_fmac_f16_e64 v184, 0xbbf1, v45
	v_add_f16_e64 v44, v133, v44
	v_fma_f16 v133, v50, 0x388b, -v200
	v_add_f16_e32 v90, v93, v90
	v_fma_f16 v93, v52, 0xb5ac, -v204
	v_add_f16_e64 v92, v208, v92
	v_add_f16_e64 v91, v196, v91
	;; [unrolled: 1-line block ×3, first 2 shown]
	v_fma_f16 v133, v51, 0xb5ac, -v214
	v_add_f16_e64 v51, v143, v131
	v_fmac_f16_e64 v198, 0x3770, v45
	v_add_f16_e32 v90, v93, v90
	v_fma_f16 v93, v55, 0x3b15, -v203
	v_add_f16_e64 v49, v133, v50
	v_fma_f16 v50, v52, 0xbbc4, -v217
	v_add_f16_e64 v92, v211, v92
	v_fmac_f16_e64 v210, 0x394e, v45
	v_fmac_f16_e64 v146, 0xbb7b, v45
	v_add_f16_e32 v42, v46, v42
	v_add_f16_e32 v47, v50, v49
	v_fma_f16 v49, v55, 0xb9fd, -v219
	v_add_f16_e64 v50, v144, v51
	v_fma_f16 v45, v55, 0xb5ac, -v132
	v_add_f16_e64 v199, v218, v199
	v_mul_f16_e64 v218, 0x3b15, v159
	v_add_f16_e64 v17, v151, v17
	v_fmac_f16_e64 v156, 0xbb7b, v48
	v_add_f16_e64 v41, v170, v41
	v_fmac_f16_e64 v174, 0x3770, v48
	;; [unrolled: 2-line block ×4, first 2 shown]
	v_add_f16_e32 v90, v93, v90
	v_fma_f16 v93, v56, 0x388b, -v206
	v_add_f16_e64 v92, v210, v92
	v_fmac_f16_e64 v215, 0x3bf1, v48
	v_add_f16_e32 v46, v49, v47
	v_fma_f16 v47, v56, 0x2fb7, -v216
	v_add_f16_e64 v49, v146, v50
	v_fmac_f16_e64 v148, 0xb94e, v48
	v_add_f16_e32 v42, v45, v42
	v_fma_f16 v40, v56, 0xb9fd, -v40
	v_fma_f16 v223, 0xb770, v53, v218
	v_add_f16_e64 v17, v156, v17
	v_fmac_f16_e64 v161, 0x3bf1, v53
	v_add_f16_e64 v41, v174, v41
	v_fmac_f16_e64 v177, 0xbb7b, v53
	;; [unrolled: 2-line block ×4, first 2 shown]
	v_add_f16_e32 v90, v93, v90
	v_fma_f16 v93, v88, 0xb9fd, -v212
	v_add_f16_e64 v92, v215, v92
	v_fmac_f16_e64 v218, 0x3770, v53
	v_add_f16_e32 v45, v47, v46
	v_fma_f16 v46, v88, 0x3b15, -v221
	v_add_f16_e64 v47, v148, v49
	v_fmac_f16_e64 v137, 0xb3a8, v53
	v_add_f16_e32 v40, v40, v42
	v_fma_f16 v42, v88, 0xbbc4, -v43
	v_add_f16_e64 v207, v223, v207
	v_add_f16_e64 v17, v161, v17
	;; [unrolled: 1-line block ×5, first 2 shown]
	v_add_f16_e32 v43, v93, v90
	v_add_f16_e64 v48, v218, v92
	v_add_f16_e32 v45, v46, v45
	v_add_f16_e64 v46, v137, v47
	v_add_f16_e32 v40, v42, v40
	v_lshl_add_u32 v42, v87, 2, v86
	v_pack_b32_f16 v21, v21, v39
	v_pack_b32_f16 v15, v15, v16
	;; [unrolled: 1-line block ×13, first 2 shown]
	ds_store_2addr_b32 v42, v15, v21 offset1:1
	ds_store_2addr_b32 v42, v39, v16 offset0:2 offset1:3
	ds_store_2addr_b32 v42, v49, v47 offset0:4 offset1:5
	ds_store_2addr_b32 v42, v18, v17 offset0:6 offset1:7
	ds_store_2addr_b32 v42, v22, v44 offset0:8 offset1:9
	ds_store_2addr_b32 v42, v43, v41 offset0:10 offset1:11
	ds_store_b32 v42, v40 offset:48
.LBB0_13:
	s_wait_alu 0xfffe
	s_or_b32 exec_lo, exec_lo, s0
	global_wb scope:SCOPE_SE
	s_wait_dscnt 0x0
	s_barrier_signal -1
	s_barrier_wait -1
	global_inv scope:SCOPE_SE
	ds_load_2addr_b32 v[15:16], v57 offset1:13
	ds_load_2addr_b32 v[17:18], v57 offset0:78 offset1:91
	ds_load_2addr_b32 v[21:22], v57 offset0:182 offset1:195
	;; [unrolled: 1-line block ×9, first 2 shown]
	ds_load_b32 v53, v57 offset:1040
	global_wb scope:SCOPE_SE
	s_wait_dscnt 0x0
	s_barrier_signal -1
	s_barrier_wait -1
	global_inv scope:SCOPE_SE
	s_mov_b32 s8, 0x1e01e01e
	s_mov_b32 s9, 0x3f6e01e0
	v_lshrrev_b32_e32 v54, 16, v15
	v_lshrrev_b32_e32 v55, 16, v18
	v_lshrrev_b32_e32 v56, 16, v21
	v_lshrrev_b32_e32 v87, 16, v39
	v_lshrrev_b32_e32 v88, 16, v22
	v_mul_f16_e64 v140, v102, v18
	v_mul_f16_e64 v138, v102, v55
	;; [unrolled: 1-line block ×3, first 2 shown]
	v_lshrrev_b32_e32 v90, 16, v40
	v_lshrrev_b32_e32 v91, 16, v43
	v_fma_f16 v55, v19, v55, -v140
	v_fmac_f16_e64 v138, v19, v18
	v_mul_f16_e32 v18, v100, v21
	v_mul_f16_e64 v140, v102, v87
	v_fmac_f16_e64 v142, v20, v21
	v_mul_f16_e32 v21, v102, v39
	v_lshrrev_b32_e32 v93, 16, v45
	v_fma_f16 v18, v20, v56, -v18
	v_mul_f16_e32 v56, v100, v88
	v_fmac_f16_e64 v140, v19, v39
	v_mul_f16_e32 v39, v100, v22
	v_fma_f16 v19, v19, v87, -v21
	v_mul_f16_e32 v21, v110, v90
	v_fmac_f16_e32 v56, v20, v22
	v_mul_f16_e32 v22, v110, v40
	v_lshrrev_b32_e32 v130, 16, v44
	v_fma_f16 v20, v20, v88, -v39
	v_mul_f16_e32 v39, v109, v91
	v_fmac_f16_e32 v21, v31, v40
	v_mul_f16_e32 v40, v109, v43
	v_fma_f16 v22, v31, v90, -v22
	v_mul_f16_e32 v31, v108, v93
	v_lshrrev_b32_e32 v132, 16, v46
	v_lshrrev_b32_e32 v133, 16, v49
	v_fmac_f16_e32 v39, v32, v43
	v_mul_f16_e32 v43, v108, v45
	v_fma_f16 v32, v32, v91, -v40
	v_mul_f16_e64 v40, v107, v130
	v_fmac_f16_e32 v31, v29, v45
	v_mul_f16_e32 v45, v107, v44
	v_lshrrev_b32_e32 v135, 16, v51
	v_fma_f16 v29, v29, v93, -v43
	v_mul_f16_e64 v43, v106, v132
	v_fmac_f16_e32 v40, v30, v44
	v_mul_f16_e32 v44, v106, v46
	v_fma_f16 v30, v30, v130, -v45
	v_mul_f16_e64 v45, v105, v133
	v_lshrrev_b32_e32 v136, 16, v50
	v_lshrrev_b32_e32 v139, 16, v52
	v_fmac_f16_e32 v43, v27, v46
	v_mul_f16_e32 v46, v105, v49
	v_fma_f16 v27, v27, v132, -v44
	v_mul_f16_e64 v44, v104, v135
	v_fmac_f16_e32 v45, v28, v49
	v_mul_f16_e32 v49, v104, v51
	v_lshrrev_b32_e32 v141, 16, v53
	v_fma_f16 v28, v28, v133, -v46
	v_mul_f16_e64 v46, v103, v136
	v_fmac_f16_e32 v44, v25, v51
	v_mul_f16_e32 v51, v103, v50
	v_fma_f16 v25, v25, v135, -v49
	v_mul_f16_e64 v49, v101, v139
	v_fmac_f16_e32 v46, v26, v50
	v_mul_f16_e32 v50, v101, v52
	;; [unrolled: 4-line block ×3, first 2 shown]
	v_fma_f16 v23, v23, v139, -v50
	v_add_f16_e64 v50, v138, v142
	v_fmac_f16_e32 v51, v24, v53
	v_add_f16_e64 v53, v15, v138
	v_fma_f16 v24, v24, v141, -v52
	v_add_f16_e32 v52, v55, v18
	v_fma_f16 v15, -0.5, v50, v15
	v_sub_f16_e32 v50, v55, v18
	v_add_f16_e32 v55, v54, v55
	v_lshrrev_b32_e32 v86, 16, v16
	v_fmac_f16_e32 v54, -0.5, v52
	v_sub_f16_e64 v52, v138, v142
	v_fmamk_f16 v87, v50, 0xbaee, v15
	v_fmac_f16_e32 v15, 0x3aee, v50
	v_add_f16_e32 v18, v55, v18
	v_add_f16_e64 v50, v140, v56
	v_fmamk_f16 v55, v52, 0x3aee, v54
	v_fmac_f16_e32 v54, 0xbaee, v52
	v_add_f16_e32 v52, v19, v20
	v_add_f16_e64 v88, v16, v140
	v_fmac_f16_e32 v16, -0.5, v50
	v_sub_f16_e32 v50, v19, v20
	v_add_f16_e32 v19, v86, v19
	v_fmac_f16_e32 v86, -0.5, v52
	v_sub_f16_e64 v52, v140, v56
	v_lshrrev_b32_e32 v89, 16, v41
	v_add_f16_e32 v88, v88, v56
	v_fmamk_f16 v56, v50, 0xbaee, v16
	v_fmac_f16_e32 v16, 0x3aee, v50
	v_add_f16_e32 v19, v19, v20
	v_add_f16_e32 v20, v21, v39
	v_fmamk_f16 v50, v52, 0x3aee, v86
	v_fmac_f16_e32 v86, 0xbaee, v52
	v_add_f16_e32 v52, v22, v32
	v_add_f16_e32 v90, v41, v21
	v_fma_f16 v20, -0.5, v20, v41
	v_sub_f16_e32 v41, v22, v32
	v_add_f16_e32 v22, v89, v22
	v_fmac_f16_e32 v89, -0.5, v52
	v_sub_f16_e32 v21, v21, v39
	v_lshrrev_b32_e32 v92, 16, v42
	v_add_f16_e32 v90, v90, v39
	v_fmamk_f16 v39, v41, 0xbaee, v20
	v_fmac_f16_e32 v20, 0x3aee, v41
	v_add_f16_e32 v22, v22, v32
	v_add_f16_e32 v32, v31, v40
	v_fmamk_f16 v41, v21, 0x3aee, v89
	v_fmac_f16_e32 v89, 0xbaee, v21
	v_add_f16_e32 v21, v29, v30
	v_add_f16_e32 v52, v42, v31
	v_fmac_f16_e32 v42, -0.5, v32
	v_sub_f16_e32 v32, v29, v30
	v_add_f16_e32 v29, v92, v29
	v_fmac_f16_e32 v92, -0.5, v21
	v_sub_f16_e32 v21, v31, v40
	v_lshrrev_b32_e32 v131, 16, v47
	v_fmamk_f16 v31, v32, 0xbaee, v42
	v_fmac_f16_e32 v42, 0x3aee, v32
	v_add_f16_e32 v29, v29, v30
	v_add_f16_e32 v30, v43, v45
	v_fmamk_f16 v32, v21, 0x3aee, v92
	v_fmac_f16_e32 v92, 0xbaee, v21
	v_add_f16_e32 v21, v27, v28
	v_add_f16_e32 v52, v52, v40
	;; [unrolled: 1-line block ×3, first 2 shown]
	v_fma_f16 v30, -0.5, v30, v47
	v_sub_f16_e32 v47, v27, v28
	v_add_f16_e64 v27, v131, v27
	v_fmac_f16_e64 v131, -0.5, v21
	v_sub_f16_e32 v21, v43, v45
	v_lshrrev_b32_e32 v134, 16, v48
	v_add_f16_e32 v40, v40, v45
	v_add_f16_e32 v27, v27, v28
	;; [unrolled: 1-line block ×3, first 2 shown]
	v_fma_f16 v45, 0x3aee, v21, v131
	v_fmac_f16_e64 v131, 0xbaee, v21
	v_add_f16_e32 v21, v25, v26
	v_fmamk_f16 v43, v47, 0xbaee, v30
	v_fmac_f16_e32 v30, 0x3aee, v47
	v_add_f16_e32 v47, v48, v44
	v_fmac_f16_e32 v48, -0.5, v28
	v_sub_f16_e32 v28, v25, v26
	v_add_f16_e64 v25, v134, v25
	v_fmac_f16_e64 v134, -0.5, v21
	v_sub_f16_e32 v21, v44, v46
	v_lshrrev_b32_e32 v137, 16, v17
	v_fmamk_f16 v44, v28, 0xbaee, v48
	v_fmac_f16_e32 v48, 0x3aee, v28
	v_add_f16_e32 v25, v25, v26
	v_add_f16_e32 v26, v49, v51
	v_fma_f16 v28, 0x3aee, v21, v134
	v_fmac_f16_e64 v134, 0xbaee, v21
	v_add_f16_e32 v21, v23, v24
	v_add_f16_e64 v53, v53, v142
	v_add_f16_e32 v47, v47, v46
	v_add_f16_e32 v46, v17, v49
	v_fmac_f16_e32 v17, -0.5, v26
	v_sub_f16_e32 v26, v23, v24
	v_add_f16_e64 v23, v137, v23
	v_fmac_f16_e64 v137, -0.5, v21
	v_sub_f16_e32 v21, v49, v51
	v_pack_b32_f16 v18, v53, v18
	v_pack_b32_f16 v15, v15, v54
	v_add_f16_e32 v23, v23, v24
	v_pack_b32_f16 v16, v16, v86
	v_fma_f16 v24, 0x3aee, v21, v137
	v_fmac_f16_e64 v137, 0xbaee, v21
	v_pack_b32_f16 v21, v87, v55
	v_add_f16_e32 v46, v46, v51
	v_fmamk_f16 v49, v26, 0xbaee, v17
	v_fmac_f16_e32 v17, 0x3aee, v26
	v_pack_b32_f16 v26, v52, v29
	ds_store_2addr_b32 v57, v18, v21 offset1:13
	v_pack_b32_f16 v18, v88, v19
	v_pack_b32_f16 v19, v56, v50
	v_pack_b32_f16 v21, v90, v22
	v_pack_b32_f16 v22, v39, v41
	ds_store_2addr_b32 v57, v15, v18 offset0:26 offset1:39
	ds_store_2addr_b32 v57, v19, v16 offset0:52 offset1:65
	;; [unrolled: 1-line block ×3, first 2 shown]
	v_pack_b32_f16 v18, v40, v27
	v_pack_b32_f16 v19, v43, v45
	;; [unrolled: 1-line block ×9, first 2 shown]
	ds_store_2addr_b32 v96, v18, v19 offset0:156 offset1:169
	v_pack_b32_f16 v18, v30, v131
	v_pack_b32_f16 v19, v48, v134
	;; [unrolled: 1-line block ×3, first 2 shown]
	ds_store_2addr_b32 v95, v26, v29 offset0:117 offset1:130
	ds_store_2addr_b32 v97, v20, v21 offset0:195 offset1:208
	;; [unrolled: 1-line block ×3, first 2 shown]
	ds_store_b32 v94, v15 offset:416
	ds_store_b32 v95, v16 offset:572
	;; [unrolled: 1-line block ×5, first 2 shown]
	global_wb scope:SCOPE_SE
	s_wait_dscnt 0x0
	s_barrier_signal -1
	s_barrier_wait -1
	global_inv scope:SCOPE_SE
	ds_load_2addr_b32 v[15:16], v57 offset1:13
	ds_load_2addr_b32 v[17:18], v57 offset0:26 offset1:39
	ds_load_2addr_b32 v[19:20], v57 offset0:78 offset1:91
	;; [unrolled: 1-line block ×9, first 2 shown]
	ds_load_b32 v43, v57 offset:1040
	s_wait_dscnt 0xa
	v_lshrrev_b32_e32 v41, 16, v15
	s_wait_dscnt 0x9
	v_lshrrev_b32_e32 v42, 16, v18
	;; [unrolled: 2-line block ×6, first 2 shown]
	v_mul_f16_e64 v88, v128, v42
	s_wait_dscnt 0x4
	v_lshrrev_b32_e32 v48, 16, v27
	v_mul_f16_e32 v93, v127, v44
	v_mul_f16_e32 v94, v127, v19
	;; [unrolled: 1-line block ×3, first 2 shown]
	v_fmac_f16_e32 v88, v4, v18
	v_mul_f16_e64 v18, v128, v18
	s_wait_dscnt 0x3
	v_lshrrev_b32_e32 v50, 16, v29
	v_lshrrev_b32_e32 v51, 16, v20
	v_mul_f16_e32 v96, v126, v22
	v_fmac_f16_e32 v93, v5, v19
	v_fma_f16 v4, v4, v42, -v18
	v_fma_f16 v5, v5, v44, -v94
	v_fmac_f16_e32 v95, v6, v22
	v_mul_f16_e32 v18, v125, v46
	v_mul_f16_e32 v19, v125, v23
	;; [unrolled: 1-line block ×5, first 2 shown]
	s_wait_dscnt 0x2
	v_lshrrev_b32_e32 v52, 16, v31
	v_lshrrev_b32_e32 v53, 16, v24
	s_wait_dscnt 0x1
	v_lshrrev_b32_e32 v54, 16, v39
	v_fmac_f16_e32 v18, v7, v23
	v_fma_f16 v7, v7, v46, -v19
	v_fmac_f16_e32 v22, v33, v26
	v_fma_f16 v19, v33, v47, -v42
	v_fmac_f16_e32 v44, v34, v27
	v_mul_f16_e32 v23, v123, v27
	v_mul_f16_e32 v26, v122, v50
	;; [unrolled: 1-line block ×5, first 2 shown]
	v_lshrrev_b32_e32 v55, 16, v28
	v_lshrrev_b32_e32 v86, 16, v30
	v_fma_f16 v23, v34, v48, -v23
	v_fmac_f16_e32 v26, v8, v29
	v_fma_f16 v8, v8, v50, -v27
	v_fmac_f16_e32 v33, v9, v20
	v_fma_f16 v9, v9, v51, -v42
	v_mul_f16_e32 v20, v120, v52
	v_mul_f16_e32 v27, v120, v31
	;; [unrolled: 1-line block ×5, first 2 shown]
	v_lshrrev_b32_e32 v87, 16, v21
	v_lshrrev_b32_e32 v89, 16, v32
	;; [unrolled: 1-line block ×3, first 2 shown]
	v_fmac_f16_e32 v20, v10, v31
	v_fma_f16 v10, v10, v52, -v27
	v_fmac_f16_e32 v29, v11, v24
	v_fma_f16 v11, v11, v53, -v34
	v_fmac_f16_e32 v42, v35, v39
	v_mul_f16_e32 v24, v118, v39
	v_mul_f16_e32 v27, v117, v55
	;; [unrolled: 1-line block ×5, first 2 shown]
	v_lshrrev_b32_e32 v91, 16, v40
	v_fma_f16 v24, v35, v54, -v24
	v_fmac_f16_e32 v27, v36, v28
	v_fma_f16 v28, v36, v55, -v31
	v_fmac_f16_e32 v34, v0, v30
	v_fma_f16 v0, v0, v86, -v39
	v_mul_f16_e32 v30, v115, v87
	v_mul_f16_e32 v31, v115, v21
	;; [unrolled: 1-line block ×5, first 2 shown]
	s_wait_dscnt 0x0
	v_lshrrev_b32_e32 v92, 16, v43
	v_fmac_f16_e32 v30, v1, v21
	v_fma_f16 v1, v1, v87, -v31
	v_fmac_f16_e32 v35, v2, v32
	v_fma_f16 v2, v2, v89, -v36
	v_fmac_f16_e32 v39, v3, v25
	v_mul_f16_e32 v21, v113, v25
	v_mul_f16_e32 v25, v112, v91
	;; [unrolled: 1-line block ×4, first 2 shown]
	v_fma_f16 v6, v6, v45, -v96
	v_mul_f16_e32 v32, v111, v92
	v_fma_f16 v3, v3, v90, -v21
	v_fmac_f16_e32 v25, v37, v40
	v_fma_f16 v21, v37, v91, -v31
	v_fma_f16 v31, v38, v92, -v36
	v_add_f16_e32 v36, v88, v44
	v_add_f16_e32 v37, v4, v23
	v_sub_f16_e32 v4, v4, v23
	v_add_f16_e32 v23, v93, v22
	v_add_f16_e32 v40, v5, v19
	v_fmac_f16_e32 v32, v38, v43
	v_sub_f16_e32 v38, v88, v44
	v_sub_f16_e32 v22, v93, v22
	;; [unrolled: 1-line block ×3, first 2 shown]
	v_add_f16_e32 v19, v95, v18
	v_add_f16_e32 v43, v6, v7
	v_sub_f16_e32 v18, v18, v95
	v_sub_f16_e32 v6, v7, v6
	v_add_f16_e32 v7, v23, v36
	v_add_f16_e32 v44, v40, v37
	v_sub_f16_e32 v45, v23, v36
	v_sub_f16_e32 v46, v40, v37
	;; [unrolled: 1-line block ×6, first 2 shown]
	v_add_f16_e32 v47, v18, v22
	v_add_f16_e32 v48, v6, v5
	v_sub_f16_e32 v50, v18, v22
	v_sub_f16_e32 v51, v6, v5
	;; [unrolled: 1-line block ×3, first 2 shown]
	v_add_f16_e32 v7, v19, v7
	v_add_f16_e32 v19, v43, v44
	v_sub_f16_e32 v5, v5, v4
	v_sub_f16_e32 v18, v38, v18
	;; [unrolled: 1-line block ×3, first 2 shown]
	v_add_f16_e32 v38, v47, v38
	v_add_f16_e32 v4, v48, v4
	;; [unrolled: 1-line block ×4, first 2 shown]
	v_mul_f16_e32 v36, 0x3a52, v36
	v_mul_f16_e32 v37, 0x3a52, v37
	;; [unrolled: 1-line block ×8, first 2 shown]
	v_fmamk_f16 v7, v7, 0xbcab, v15
	v_fmamk_f16 v19, v19, 0xbcab, v41
	;; [unrolled: 1-line block ×4, first 2 shown]
	v_fma_f16 v43, v45, 0x39e0, -v43
	v_fma_f16 v44, v46, 0x39e0, -v44
	;; [unrolled: 1-line block ×4, first 2 shown]
	v_fmamk_f16 v45, v18, 0xb574, v47
	v_fmamk_f16 v46, v6, 0xb574, v48
	v_fma_f16 v18, v18, 0x3574, -v50
	v_fma_f16 v6, v6, 0x3574, -v51
	;; [unrolled: 1-line block ×4, first 2 shown]
	v_add_f16_e32 v23, v23, v7
	v_add_f16_e32 v40, v40, v19
	;; [unrolled: 1-line block ×6, first 2 shown]
	v_fmac_f16_e32 v45, 0xb70e, v38
	v_fmac_f16_e32 v46, 0xb70e, v4
	;; [unrolled: 1-line block ×6, first 2 shown]
	v_add_f16_e32 v4, v46, v23
	v_sub_f16_e32 v36, v40, v45
	v_add_f16_e32 v37, v6, v7
	v_sub_f16_e32 v38, v19, v18
	v_sub_f16_e32 v6, v7, v6
	v_add_f16_e32 v7, v18, v19
	v_sub_f16_e32 v18, v23, v46
	v_add_f16_e32 v19, v45, v40
	v_add_f16_e32 v23, v26, v27
	;; [unrolled: 1-line block ×3, first 2 shown]
	v_sub_f16_e32 v26, v26, v27
	v_sub_f16_e32 v8, v8, v28
	v_add_f16_e32 v27, v33, v42
	v_add_f16_e32 v28, v9, v24
	v_sub_f16_e32 v33, v33, v42
	v_sub_f16_e32 v9, v9, v24
	v_add_f16_e32 v24, v20, v29
	v_add_f16_e32 v42, v10, v11
	;; [unrolled: 4-line block ×3, first 2 shown]
	v_lshrrev_b32_e32 v49, 16, v16
	v_sub_f16_e32 v47, v43, v5
	v_add_f16_e32 v48, v22, v44
	v_add_f16_e32 v5, v5, v43
	v_sub_f16_e32 v22, v44, v22
	v_sub_f16_e32 v43, v27, v23
	;; [unrolled: 1-line block ×7, first 2 shown]
	v_add_f16_e32 v45, v20, v33
	v_add_f16_e32 v46, v10, v9
	v_sub_f16_e32 v50, v20, v33
	v_sub_f16_e32 v51, v10, v9
	v_sub_f16_e32 v33, v33, v26
	v_add_f16_e32 v11, v24, v11
	v_add_f16_e32 v24, v42, v29
	v_sub_f16_e32 v9, v9, v8
	v_sub_f16_e32 v20, v26, v20
	;; [unrolled: 1-line block ×3, first 2 shown]
	v_add_f16_e32 v26, v45, v26
	v_add_f16_e32 v8, v46, v8
	;; [unrolled: 1-line block ×4, first 2 shown]
	v_mul_f16_e32 v23, 0x3a52, v23
	v_mul_f16_e32 v40, 0x3a52, v40
	v_mul_f16_e32 v42, 0x2b26, v27
	v_mul_f16_e32 v45, 0x2b26, v28
	v_mul_f16_e32 v46, 0x3846, v50
	v_mul_f16_e32 v49, 0x3846, v51
	v_mul_f16_e32 v50, 0xbb00, v33
	v_mul_f16_e32 v51, 0xbb00, v9
	v_fmamk_f16 v11, v11, 0xbcab, v16
	v_fmamk_f16 v24, v24, 0xbcab, v29
	;; [unrolled: 1-line block ×4, first 2 shown]
	v_fma_f16 v42, v43, 0x39e0, -v42
	v_fma_f16 v45, v44, 0x39e0, -v45
	;; [unrolled: 1-line block ×4, first 2 shown]
	v_fmamk_f16 v43, v20, 0xb574, v46
	v_fmamk_f16 v44, v10, 0xb574, v49
	v_fma_f16 v20, v20, 0x3574, -v50
	v_fma_f16 v10, v10, 0x3574, -v51
	;; [unrolled: 1-line block ×4, first 2 shown]
	v_add_f16_e32 v27, v27, v11
	v_add_f16_e32 v28, v28, v24
	;; [unrolled: 1-line block ×5, first 2 shown]
	v_fmac_f16_e32 v43, 0xb70e, v26
	v_fmac_f16_e32 v44, 0xb70e, v8
	;; [unrolled: 1-line block ×4, first 2 shown]
	v_add_f16_e32 v45, v45, v24
	v_fmac_f16_e32 v33, 0xb70e, v26
	v_fmac_f16_e32 v9, 0xb70e, v8
	v_add_f16_e32 v8, v44, v27
	v_sub_f16_e32 v24, v28, v43
	v_add_f16_e32 v26, v10, v11
	v_sub_f16_e32 v40, v23, v20
	v_sub_f16_e32 v10, v11, v10
	v_add_f16_e32 v11, v20, v23
	v_sub_f16_e32 v20, v27, v44
	v_add_f16_e32 v23, v43, v28
	v_add_f16_e32 v27, v34, v32
	;; [unrolled: 1-line block ×3, first 2 shown]
	v_sub_f16_e32 v32, v34, v32
	v_sub_f16_e32 v0, v0, v31
	v_add_f16_e32 v31, v30, v25
	v_add_f16_e32 v34, v1, v21
	v_sub_f16_e32 v25, v30, v25
	v_sub_f16_e32 v1, v1, v21
	v_add_f16_e32 v21, v35, v39
	v_add_f16_e32 v30, v2, v3
	;; [unrolled: 4-line block ×3, first 2 shown]
	v_lshrrev_b32_e32 v56, 16, v17
	v_sub_f16_e32 v46, v42, v9
	v_add_f16_e32 v49, v33, v45
	v_add_f16_e32 v9, v9, v42
	v_sub_f16_e32 v33, v45, v33
	v_sub_f16_e32 v42, v31, v27
	;; [unrolled: 1-line block ×7, first 2 shown]
	v_add_f16_e32 v44, v35, v25
	v_add_f16_e32 v45, v2, v1
	v_sub_f16_e32 v50, v35, v25
	v_sub_f16_e32 v51, v2, v1
	;; [unrolled: 1-line block ×3, first 2 shown]
	v_add_f16_e32 v3, v21, v3
	v_add_f16_e32 v21, v30, v39
	v_sub_f16_e32 v1, v1, v0
	v_sub_f16_e32 v35, v32, v35
	;; [unrolled: 1-line block ×3, first 2 shown]
	v_add_f16_e32 v30, v44, v32
	v_add_f16_e32 v0, v45, v0
	;; [unrolled: 1-line block ×4, first 2 shown]
	v_mul_f16_e32 v27, 0x3a52, v27
	v_mul_f16_e32 v28, 0x3a52, v28
	v_mul_f16_e32 v39, 0x2b26, v31
	v_mul_f16_e32 v44, 0x2b26, v34
	v_mul_f16_e32 v45, 0x3846, v50
	v_mul_f16_e32 v50, 0x3846, v51
	v_mul_f16_e32 v51, 0xbb00, v25
	v_mul_f16_e32 v52, 0xbb00, v1
	v_fmamk_f16 v3, v3, 0xbcab, v17
	v_fmamk_f16 v21, v21, 0xbcab, v32
	;; [unrolled: 1-line block ×4, first 2 shown]
	v_fma_f16 v39, v42, 0x39e0, -v39
	v_fma_f16 v44, v43, 0x39e0, -v44
	;; [unrolled: 1-line block ×4, first 2 shown]
	v_fmamk_f16 v42, v35, 0xb574, v45
	v_fmamk_f16 v43, v2, 0xb574, v50
	v_fma_f16 v35, v35, 0x3574, -v51
	v_fma_f16 v2, v2, 0x3574, -v52
	;; [unrolled: 1-line block ×4, first 2 shown]
	v_add_f16_e32 v31, v31, v3
	v_add_f16_e32 v34, v34, v21
	;; [unrolled: 1-line block ×6, first 2 shown]
	v_fmac_f16_e32 v42, 0xb70e, v30
	v_fmac_f16_e32 v43, 0xb70e, v0
	;; [unrolled: 1-line block ×4, first 2 shown]
	v_pack_b32_f16 v15, v15, v41
	v_pack_b32_f16 v16, v16, v29
	v_fmac_f16_e32 v25, 0xb70e, v30
	v_fmac_f16_e32 v1, 0xb70e, v0
	v_add_f16_e32 v0, v43, v31
	v_sub_f16_e32 v27, v34, v42
	v_add_f16_e32 v28, v2, v3
	v_sub_f16_e32 v30, v21, v35
	v_sub_f16_e32 v2, v3, v2
	v_add_f16_e32 v3, v35, v21
	v_sub_f16_e32 v21, v31, v43
	v_add_f16_e32 v31, v42, v34
	v_pack_b32_f16 v34, v37, v38
	v_pack_b32_f16 v8, v8, v24
	;; [unrolled: 1-line block ×3, first 2 shown]
	ds_store_2addr_b32 v57, v15, v16 offset1:13
	v_pack_b32_f16 v15, v26, v40
	v_pack_b32_f16 v5, v5, v22
	;; [unrolled: 1-line block ×3, first 2 shown]
	v_sub_f16_e32 v45, v39, v1
	v_add_f16_e32 v50, v25, v44
	v_add_f16_e32 v1, v1, v39
	v_sub_f16_e32 v25, v44, v25
	v_pack_b32_f16 v6, v6, v7
	v_pack_b32_f16 v9, v9, v33
	;; [unrolled: 1-line block ×4, first 2 shown]
	ds_store_2addr_b32 v57, v8, v34 offset0:52 offset1:78
	ds_store_2addr_b32 v57, v15, v29 offset0:91 offset1:117
	;; [unrolled: 1-line block ×5, first 2 shown]
	v_pack_b32_f16 v5, v20, v23
	v_pack_b32_f16 v4, v4, v36
	;; [unrolled: 1-line block ×9, first 2 shown]
	ds_store_b32 v57, v5 offset:988
	ds_store_2addr_b32 v57, v6, v4 offset0:26 offset1:39
	ds_store_2addr_b32 v129, v0, v7 offset0:39 offset1:78
	;; [unrolled: 1-line block ×4, first 2 shown]
	global_wb scope:SCOPE_SE
	s_wait_dscnt 0x0
	s_barrier_signal -1
	s_barrier_wait -1
	global_inv scope:SCOPE_SE
	ds_load_2addr_b32 v[0:1], v57 offset1:21
	s_wait_dscnt 0x0
	v_lshrrev_b32_e32 v4, 16, v0
	s_delay_alu instid0(VALU_DEP_1) | instskip(NEXT) | instid1(VALU_DEP_1)
	v_mul_f16_e32 v2, v85, v4
	v_fmac_f16_e32 v2, v83, v0
	v_mul_f16_e32 v0, v85, v0
	s_delay_alu instid0(VALU_DEP_2) | instskip(NEXT) | instid1(VALU_DEP_2)
	v_cvt_f32_f16_e32 v2, v2
	v_fma_f16 v0, v83, v4, -v0
	s_delay_alu instid0(VALU_DEP_2) | instskip(NEXT) | instid1(VALU_DEP_2)
	v_cvt_f64_f32_e32 v[2:3], v2
	v_cvt_f32_f16_e32 v0, v0
	s_delay_alu instid0(VALU_DEP_1) | instskip(SKIP_1) | instid1(VALU_DEP_1)
	v_cvt_f64_f32_e32 v[4:5], v0
	v_lshrrev_b32_e32 v0, 16, v1
	v_mul_f16_e32 v6, v84, v0
	s_delay_alu instid0(VALU_DEP_1) | instskip(SKIP_1) | instid1(VALU_DEP_2)
	v_fmac_f16_e32 v6, v81, v1
	v_mul_f16_e32 v1, v84, v1
	v_cvt_f32_f16_e32 v6, v6
	s_delay_alu instid0(VALU_DEP_2) | instskip(NEXT) | instid1(VALU_DEP_2)
	v_fma_f16 v0, v81, v0, -v1
	v_cvt_f64_f32_e32 v[6:7], v6
	s_delay_alu instid0(VALU_DEP_2) | instskip(SKIP_3) | instid1(VALU_DEP_4)
	v_cvt_f32_f16_e32 v0, v0
	s_wait_alu 0xfffe
	v_mul_f64_e32 v[2:3], s[8:9], v[2:3]
	v_mul_f64_e32 v[4:5], s[8:9], v[4:5]
	;; [unrolled: 1-line block ×3, first 2 shown]
	s_delay_alu instid0(VALU_DEP_3) | instskip(SKIP_3) | instid1(VALU_DEP_4)
	v_and_or_b32 v2, 0x1ff, v3, v2
	v_lshrrev_b32_e32 v8, 8, v3
	v_bfe_u32 v9, v3, 20, 11
	v_lshrrev_b32_e32 v22, 16, v3
	v_cmp_ne_u32_e64 s0, 0, v2
	v_and_or_b32 v1, 0x1ff, v5, v4
	s_delay_alu instid0(VALU_DEP_4)
	v_add_nc_u32_e32 v17, 0xfffffc10, v9
	v_lshrrev_b32_e32 v15, 8, v5
	v_bfe_u32 v16, v5, 20, 11
	s_wait_alu 0xf1ff
	v_cndmask_b32_e64 v2, 0, 1, s0
	v_cmp_ne_u32_e64 s0, 0, v1
	v_cvt_f64_f32_e32 v[0:1], v0
	v_lshrrev_b32_e32 v23, 16, v5
	s_delay_alu instid0(VALU_DEP_4) | instskip(SKIP_3) | instid1(VALU_DEP_3)
	v_and_or_b32 v11, 0xffe, v8, v2
	v_sub_nc_u32_e32 v2, 0x3f1, v9
	s_wait_alu 0xf1ff
	v_cndmask_b32_e64 v4, 0, 1, s0
	v_or_b32_e32 v8, 0x1000, v11
	s_delay_alu instid0(VALU_DEP_3) | instskip(NEXT) | instid1(VALU_DEP_3)
	v_med3_i32 v2, v2, 0, 13
	v_and_or_b32 v4, 0xffe, v15, v4
	v_sub_nc_u32_e32 v15, 0x3f1, v16
	s_delay_alu instid0(VALU_DEP_3) | instskip(NEXT) | instid1(VALU_DEP_3)
	v_lshrrev_b32_e32 v10, v2, v8
	v_or_b32_e32 v18, 0x1000, v4
	s_delay_alu instid0(VALU_DEP_3) | instskip(SKIP_1) | instid1(VALU_DEP_4)
	v_med3_i32 v15, v15, 0, 13
	v_and_or_b32 v6, 0x1ff, v7, v6
	v_lshlrev_b32_e32 v2, v2, v10
	s_delay_alu instid0(VALU_DEP_3) | instskip(NEXT) | instid1(VALU_DEP_2)
	v_lshrrev_b32_e32 v20, v15, v18
	v_cmp_ne_u32_e64 s0, v2, v8
	v_mad_co_u64_u32 v[8:9], null, s6, v14, 0
	s_delay_alu instid0(VALU_DEP_3) | instskip(SKIP_1) | instid1(VALU_DEP_3)
	v_lshlrev_b32_e32 v15, v15, v20
	s_wait_alu 0xf1ff
	v_cndmask_b32_e64 v2, 0, 1, s0
	v_cmp_gt_i32_e64 s0, 1, v17
	s_delay_alu instid0(VALU_DEP_3) | instskip(SKIP_1) | instid1(VALU_DEP_4)
	v_cmp_ne_u32_e64 s2, v15, v18
	v_add_nc_u32_e32 v18, 0xfffffc10, v16
	v_or_b32_e32 v2, v10, v2
	v_lshl_or_b32 v10, v17, 12, v11
	s_wait_alu 0xf1ff
	v_cndmask_b32_e64 v15, 0, 1, s2
	v_mul_f64_e32 v[0:1], s[8:9], v[0:1]
	v_cmp_ne_u32_e64 s2, 0, v6
	v_cndmask_b32_e64 v19, v10, v2, s0
	v_mov_b32_e32 v2, v9
	ds_load_2addr_b32 v[9:10], v57 offset0:42 offset1:63
	v_or_b32_e32 v15, v20, v15
	s_wait_alu 0xf1ff
	v_cndmask_b32_e64 v6, 0, 1, s2
	v_and_b32_e32 v21, 7, v19
	v_lshrrev_b32_e32 v19, 2, v19
	s_delay_alu instid0(VALU_DEP_2) | instskip(SKIP_1) | instid1(VALU_DEP_1)
	v_cmp_lt_i32_e64 s0, 5, v21
	v_cmp_eq_u32_e64 s1, 3, v21
	s_or_b32 s0, s1, s0
	s_wait_alu 0xfffe
	v_add_co_ci_u32_e64 v16, s0, 0, v19, s0
	v_cmp_ne_u32_e64 s0, 0, v11
	v_lshl_or_b32 v19, v18, 12, v4
	s_wait_dscnt 0x0
	v_lshrrev_b32_e32 v20, 16, v9
	s_wait_alu 0xf1ff
	v_cndmask_b32_e64 v11, 0, 1, s0
	v_cmp_gt_i32_e64 s0, 31, v17
	s_delay_alu instid0(VALU_DEP_2) | instskip(SKIP_1) | instid1(VALU_DEP_2)
	v_lshl_or_b32 v11, v11, 9, 0x7c00
	s_wait_alu 0xf1ff
	v_cndmask_b32_e64 v16, 0x7c00, v16, s0
	v_cmp_gt_i32_e64 s0, 1, v18
	v_and_or_b32 v0, 0x1ff, v1, v0
	s_wait_alu 0xf1ff
	s_delay_alu instid0(VALU_DEP_2) | instskip(SKIP_3) | instid1(VALU_DEP_4)
	v_cndmask_b32_e64 v19, v19, v15, s0
	v_mad_co_u64_u32 v[14:15], null, s7, v14, v[2:3]
	v_mul_f16_e32 v15, v82, v20
	v_cmp_eq_u32_e64 s0, 0x40f, v17
	v_and_b32_e32 v2, 7, v19
	v_bfe_u32 v17, v7, 20, 11
	v_bfe_u32 v24, v1, 20, 11
	v_fmac_f16_e32 v15, v79, v9
	s_wait_alu 0xf1ff
	v_cndmask_b32_e64 v11, v16, v11, s0
	v_cmp_lt_i32_e64 s0, 5, v2
	v_cmp_eq_u32_e64 s1, 3, v2
	v_lshrrev_b32_e32 v2, 2, v19
	v_lshrrev_b32_e32 v16, 8, v7
	v_cvt_f32_f16_e32 v15, v15
	v_mul_f16_e32 v9, v82, v9
	s_or_b32 s0, s1, s0
	v_and_or_b32 v11, 0x8000, v22, v11
	s_wait_alu 0xfffe
	v_add_co_ci_u32_e64 v2, s0, 0, v2, s0
	v_and_or_b32 v19, 0xffe, v16, v6
	v_cvt_f64_f32_e32 v[15:16], v15
	v_cmp_ne_u32_e64 s0, 0, v4
	v_sub_nc_u32_e32 v6, 0x3f1, v17
	v_and_b32_e32 v11, 0xffff, v11
	v_or_b32_e32 v21, 0x1000, v19
	v_lshrrev_b32_e32 v7, 16, v7
	s_wait_alu 0xf1ff
	v_cndmask_b32_e64 v4, 0, 1, s0
	v_cmp_gt_i32_e64 s0, 31, v18
	v_med3_i32 v6, v6, 0, 13
	s_mul_u64 s[6:7], s[4:5], 21
	s_delay_alu instid0(VALU_DEP_3)
	v_lshl_or_b32 v4, v4, 9, 0x7c00
	s_wait_alu 0xf1ff
	v_cndmask_b32_e64 v2, 0x7c00, v2, s0
	v_cmp_eq_u32_e64 s0, 0x40f, v18
	v_lshrrev_b32_e32 v3, v6, v21
	s_wait_alu 0xfffe
	s_lshl_b64 s[6:7], s[6:7], 2
	s_delay_alu instid0(VALU_DEP_2)
	v_cndmask_b32_e64 v18, v2, v4, s0
	v_cmp_ne_u32_e64 s0, 0, v0
	v_lshlrev_b32_e32 v2, v6, v3
	v_lshrrev_b32_e32 v6, 8, v1
	v_mad_co_u64_u32 v[4:5], null, s4, v78, 0
	s_wait_alu 0xf1ff
	v_cndmask_b32_e64 v0, 0, 1, s0
	v_cmp_ne_u32_e64 s0, v2, v21
	s_delay_alu instid0(VALU_DEP_2)
	v_and_or_b32 v25, 0xffe, v6, v0
	v_fma_f16 v0, v79, v20, -v9
	v_sub_nc_u32_e32 v6, 0x3f1, v24
	s_wait_alu 0xf1ff
	v_cndmask_b32_e64 v2, 0, 1, s0
	v_add_nc_u32_e32 v20, 0xfffffc10, v17
	v_or_b32_e32 v17, 0x1000, v25
	v_cvt_f32_f16_e32 v9, v0
	v_mov_b32_e32 v0, v5
	v_med3_i32 v21, v6, 0, 13
	v_or_b32_e32 v26, v3, v2
	v_cmp_gt_i32_e64 s0, 1, v20
	v_cvt_f64_f32_e32 v[2:3], v9
	v_lshl_or_b32 v9, v20, 12, v19
	v_lshrrev_b32_e32 v27, v21, v17
	v_mul_f64_e32 v[15:16], s[8:9], v[15:16]
	v_mad_co_u64_u32 v[5:6], null, s5, v78, v[0:1]
	s_wait_alu 0xf1ff
	v_cndmask_b32_e64 v0, v9, v26, s0
	v_dual_mov_b32 v9, v14 :: v_dual_lshlrev_b32 v6, v21, v27
	v_and_or_b32 v14, 0x8000, v23, v18
	v_add_nc_u32_e32 v21, 0xfffffc10, v24
	s_delay_alu instid0(VALU_DEP_4) | instskip(NEXT) | instid1(VALU_DEP_4)
	v_and_b32_e32 v18, 7, v0
	v_cmp_ne_u32_e64 s0, v6, v17
	v_lshrrev_b32_e32 v0, 2, v0
	v_lshl_or_b32 v22, v14, 16, v11
	v_lshl_or_b32 v17, v21, 12, v25
	v_cmp_eq_u32_e64 s1, 3, v18
	s_wait_alu 0xf1ff
	v_cndmask_b32_e64 v6, 0, 1, s0
	v_cmp_lt_i32_e64 s0, 5, v18
	v_cmp_gt_i32_e64 s2, 1, v21
	v_lshlrev_b64_e32 v[8:9], 2, v[8:9]
	s_delay_alu instid0(VALU_DEP_4) | instskip(NEXT) | instid1(VALU_DEP_4)
	v_or_b32_e32 v6, v27, v6
	s_or_b32 s0, s1, s0
	s_wait_alu 0xfffe
	v_add_co_ci_u32_e64 v0, s0, 0, v0, s0
	v_cmp_ne_u32_e64 s0, 0, v19
	v_cndmask_b32_e64 v6, v17, v6, s2
	v_cmp_eq_u32_e64 s2, 0x40f, v20
	v_lshrrev_b32_e32 v19, 16, v10
	s_wait_alu 0xf1ff
	v_cndmask_b32_e64 v11, 0, 1, s0
	v_cmp_gt_i32_e64 s0, 31, v20
	v_and_b32_e32 v14, 7, v6
	s_delay_alu instid0(VALU_DEP_3) | instskip(SKIP_1) | instid1(VALU_DEP_3)
	v_lshl_or_b32 v11, v11, 9, 0x7c00
	s_wait_alu 0xf1ff
	v_cndmask_b32_e64 v0, 0x7c00, v0, s0
	s_delay_alu instid0(VALU_DEP_3)
	v_cmp_lt_i32_e64 s0, 5, v14
	v_cmp_eq_u32_e64 s1, 3, v14
	v_mul_f64_e32 v[17:18], s[8:9], v[2:3]
	v_and_or_b32 v2, 0x1ff, v16, v15
	v_cndmask_b32_e64 v11, v0, v11, s2
	v_lshrrev_b32_e32 v0, 2, v6
	s_or_b32 s0, s1, s0
	v_mul_f16_e32 v3, v80, v19
	v_lshrrev_b32_e32 v6, 8, v16
	v_bfe_u32 v20, v16, 20, 11
	s_wait_alu 0xfffe
	v_add_co_ci_u32_e64 v0, s0, 0, v0, s0
	v_cmp_ne_u32_e64 s0, 0, v2
	v_fmac_f16_e32 v3, v76, v10
	v_and_or_b32 v7, 0x8000, v7, v11
	v_lshrrev_b32_e32 v16, 16, v16
	s_wait_alu 0xf1ff
	v_cndmask_b32_e64 v2, 0, 1, s0
	v_cmp_ne_u32_e64 s0, 0, v25
	v_cvt_f32_f16_e32 v3, v3
	v_lshrrev_b32_e32 v25, 16, v1
	s_delay_alu instid0(VALU_DEP_4)
	v_and_or_b32 v24, 0xffe, v6, v2
	s_wait_alu 0xf1ff
	v_cndmask_b32_e64 v23, 0, 1, s0
	v_sub_nc_u32_e32 v2, 0x3f1, v20
	v_cmp_gt_i32_e64 s0, 31, v21
	v_cvt_f64_f32_e32 v[14:15], v3
	v_or_b32_e32 v6, 0x1000, v24
	v_lshl_or_b32 v3, v23, 9, 0x7c00
	v_med3_i32 v23, v2, 0, 13
	s_wait_alu 0xf1ff
	v_cndmask_b32_e64 v0, 0x7c00, v0, s0
	v_cmp_eq_u32_e64 s0, 0x40f, v21
	s_delay_alu instid0(VALU_DEP_3) | instskip(SKIP_1) | instid1(VALU_DEP_2)
	v_lshrrev_b32_e32 v26, v23, v6
	s_wait_alu 0xf1ff
	v_cndmask_b32_e64 v21, v0, v3, s0
	v_add_co_u32 v2, s0, s10, v8
	s_delay_alu instid0(VALU_DEP_3)
	v_lshlrev_b32_e32 v8, v23, v26
	s_wait_alu 0xf1ff
	v_add_co_ci_u32_e64 v3, s0, s11, v9, s0
	v_lshlrev_b64_e32 v[0:1], 2, v[4:5]
	v_and_or_b32 v4, 0x1ff, v18, v17
	v_cmp_ne_u32_e64 s0, v8, v6
	v_mul_f16_e32 v6, v80, v10
	v_add_nc_u32_e32 v17, 0xfffffc10, v20
	v_lshrrev_b32_e32 v8, 8, v18
	v_bfe_u32 v10, v18, 20, 11
	s_wait_alu 0xf1ff
	v_cndmask_b32_e64 v5, 0, 1, s0
	v_cmp_ne_u32_e64 s0, 0, v4
	v_fma_f16 v6, v76, v19, -v6
	v_lshl_or_b32 v9, v17, 12, v24
	v_and_or_b32 v11, 0x8000, v25, v21
	v_or_b32_e32 v5, v26, v5
	s_wait_alu 0xf1ff
	v_cndmask_b32_e64 v4, 0, 1, s0
	v_cvt_f32_f16_e32 v6, v6
	v_cmp_gt_i32_e64 s0, 1, v17
	v_and_b32_e32 v25, 0xffff, v7
	v_lshrrev_b32_e32 v18, 16, v18
	v_and_or_b32 v19, 0xffe, v8, v4
	v_sub_nc_u32_e32 v4, 0x3f1, v10
	s_wait_alu 0xf1ff
	v_cndmask_b32_e64 v20, v9, v5, s0
	v_add_co_u32 v0, s0, v2, v0
	v_or_b32_e32 v21, 0x1000, v19
	v_med3_i32 v23, v4, 0, 13
	v_cvt_f64_f32_e32 v[4:5], v6
	v_mul_f64_e32 v[6:7], s[8:9], v[14:15]
	v_and_b32_e32 v14, 7, v20
	ds_load_2addr_b32 v[8:9], v57 offset0:84 offset1:105
	v_lshrrev_b32_e32 v15, v23, v21
	s_wait_alu 0xf1ff
	v_add_co_ci_u32_e64 v1, s0, v3, v1, s0
	v_cmp_lt_i32_e64 s0, 5, v14
	v_cmp_eq_u32_e64 s1, 3, v14
	v_lshl_or_b32 v25, v11, 16, v25
	v_lshrrev_b32_e32 v11, 2, v20
	v_lshlrev_b32_e32 v23, v23, v15
	v_add_nc_u32_e32 v20, 0xfffffc10, v10
	s_or_b32 s0, s1, s0
	s_wait_alu 0xfffe
	v_add_co_ci_u32_e64 v10, s0, 0, v11, s0
	v_cmp_ne_u32_e64 s2, v23, v21
	v_cmp_ne_u32_e64 s0, 0, v24
	s_wait_alu 0xf1ff
	s_delay_alu instid0(VALU_DEP_2) | instskip(NEXT) | instid1(VALU_DEP_2)
	v_cndmask_b32_e64 v14, 0, 1, s2
	v_cndmask_b32_e64 v11, 0, 1, s0
	v_cmp_gt_i32_e64 s0, 31, v17
	s_wait_dscnt 0x0
	v_lshrrev_b32_e32 v21, 16, v8
	v_or_b32_e32 v14, v15, v14
	v_lshl_or_b32 v15, v20, 12, v19
	s_wait_alu 0xf1ff
	v_cndmask_b32_e64 v10, 0x7c00, v10, s0
	v_cmp_gt_i32_e64 s0, 1, v20
	v_lshl_or_b32 v11, v11, 9, 0x7c00
	s_wait_alu 0xf1ff
	s_delay_alu instid0(VALU_DEP_2)
	v_cndmask_b32_e64 v14, v15, v14, s0
	v_mul_f16_e32 v15, v77, v21
	v_cmp_eq_u32_e64 s0, 0x40f, v17
	v_mul_f64_e32 v[4:5], s[8:9], v[4:5]
	v_and_or_b32 v6, 0x1ff, v7, v6
	v_bfe_u32 v23, v7, 20, 11
	v_fmac_f16_e32 v15, v74, v8
	s_wait_alu 0xf1ff
	v_cndmask_b32_e64 v17, v10, v11, s0
	v_and_b32_e32 v10, 7, v14
	v_cmp_ne_u32_e64 s2, 0, v6
	v_lshrrev_b32_e32 v14, 2, v14
	v_mul_f16_e32 v8, v77, v8
	s_delay_alu instid0(VALU_DEP_4)
	v_cmp_lt_i32_e64 s0, 5, v10
	v_cmp_eq_u32_e64 s1, 3, v10
	v_cvt_f32_f16_e32 v10, v15
	s_wait_alu 0xf1ff
	v_cndmask_b32_e64 v6, 0, 1, s2
	v_lshrrev_b32_e32 v15, 8, v7
	v_fma_f16 v8, v74, v21, -v8
	s_or_b32 s0, s1, s0
	v_cvt_f64_f32_e32 v[10:11], v10
	s_wait_alu 0xfffe
	v_add_co_ci_u32_e64 v14, s0, 0, v14, s0
	v_cmp_ne_u32_e64 s0, 0, v19
	v_and_or_b32 v6, 0xffe, v15, v6
	v_sub_nc_u32_e32 v15, 0x3f1, v23
	v_cvt_f32_f16_e32 v8, v8
	s_wait_alu 0xf1ff
	v_cndmask_b32_e64 v19, 0, 1, s0
	v_cmp_gt_i32_e64 s0, 31, v20
	v_or_b32_e32 v24, 0x1000, v6
	v_med3_i32 v26, v15, 0, 13
	s_delay_alu instid0(VALU_DEP_4)
	v_lshl_or_b32 v19, v19, 9, 0x7c00
	s_wait_alu 0xf1ff
	v_cndmask_b32_e64 v14, 0x7c00, v14, s0
	v_cmp_eq_u32_e64 s0, 0x40f, v20
	v_lshrrev_b32_e32 v20, v26, v24
	s_wait_alu 0xf1ff
	s_delay_alu instid0(VALU_DEP_2) | instskip(NEXT) | instid1(VALU_DEP_2)
	v_cndmask_b32_e64 v19, v14, v19, s0
	v_lshlrev_b32_e32 v21, v26, v20
	v_add_co_u32 v14, s0, v0, s6
	s_wait_alu 0xf1ff
	v_add_co_ci_u32_e64 v15, s0, s7, v1, s0
	v_and_or_b32 v4, 0x1ff, v5, v4
	v_cmp_ne_u32_e64 s0, v21, v24
	v_and_or_b32 v18, 0x8000, v18, v19
	v_and_or_b32 v26, 0x8000, v16, v17
	v_cvt_f64_f32_e32 v[16:17], v8
	v_add_nc_u32_e32 v21, 0xfffffc10, v23
	s_wait_alu 0xf1ff
	v_cndmask_b32_e64 v19, 0, 1, s0
	v_cmp_ne_u32_e64 s0, 0, v4
	v_lshrrev_b32_e32 v8, 8, v5
	v_bfe_u32 v23, v5, 20, 11
	v_and_b32_e32 v24, 0xffff, v26
	v_or_b32_e32 v19, v20, v19
	s_wait_alu 0xf1ff
	v_cndmask_b32_e64 v4, 0, 1, s0
	v_mul_f64_e32 v[10:11], s[8:9], v[10:11]
	v_lshl_or_b32 v20, v21, 12, v6
	v_cmp_gt_i32_e64 s0, 1, v21
	v_lshl_or_b32 v18, v18, 16, v24
	v_and_or_b32 v4, 0xffe, v8, v4
	v_sub_nc_u32_e32 v8, 0x3f1, v23
	s_clause 0x1
	global_store_b32 v[0:1], v22, off
	global_store_b32 v[14:15], v25, off
	s_wait_alu 0xf1ff
	v_cndmask_b32_e64 v19, v20, v19, s0
	v_add_co_u32 v0, s0, v14, s6
	v_or_b32_e32 v20, 0x1000, v4
	v_med3_i32 v8, v8, 0, 13
	s_delay_alu instid0(VALU_DEP_4)
	v_and_b32_e32 v22, 7, v19
	s_wait_alu 0xf1ff
	v_add_co_ci_u32_e64 v1, s0, s7, v15, s0
	v_lshrrev_b32_e32 v14, 2, v19
	v_lshrrev_b32_e32 v24, v8, v20
	v_cmp_lt_i32_e64 s0, 5, v22
	v_cmp_eq_u32_e64 s1, 3, v22
	v_lshrrev_b32_e32 v22, 16, v9
	v_add_nc_u32_e32 v19, 0xfffffc10, v23
	v_lshlrev_b32_e32 v8, v8, v24
	v_lshrrev_b32_e32 v5, 16, v5
	s_or_b32 s0, s1, s0
	global_store_b32 v[0:1], v18, off
	s_wait_alu 0xfffe
	v_add_co_ci_u32_e64 v23, s0, 0, v14, s0
	v_cmp_ne_u32_e64 s2, v8, v20
	v_cmp_gt_i32_e64 s0, 31, v21
	v_mul_f16_e32 v20, v75, v22
	v_mul_f64_e32 v[14:15], s[8:9], v[16:17]
	s_wait_alu 0xf1ff
	v_cndmask_b32_e64 v8, 0, 1, s2
	v_cndmask_b32_e64 v23, 0x7c00, v23, s0
	v_cmp_gt_i32_e64 s0, 1, v19
	v_fmac_f16_e32 v20, v73, v9
	v_cmp_eq_u32_e64 s2, 0x40f, v21
	v_or_b32_e32 v8, v24, v8
	v_lshl_or_b32 v24, v19, 12, v4
	v_and_or_b32 v10, 0x1ff, v11, v10
	v_cvt_f32_f16_e32 v16, v20
	v_bfe_u32 v25, v11, 20, 11
	v_mul_f16_e32 v9, v75, v9
	s_wait_alu 0xf1ff
	v_cndmask_b32_e64 v8, v24, v8, s0
	v_cmp_ne_u32_e64 s0, 0, v6
	v_cvt_f64_f32_e32 v[16:17], v16
	v_lshrrev_b32_e32 v24, 8, v11
	v_lshrrev_b32_e32 v11, 16, v11
	v_and_b32_e32 v20, 7, v8
	s_wait_alu 0xf1ff
	v_cndmask_b32_e64 v6, 0, 1, s0
	v_cmp_ne_u32_e64 s0, 0, v10
	s_delay_alu instid0(VALU_DEP_3) | instskip(NEXT) | instid1(VALU_DEP_3)
	v_cmp_eq_u32_e64 s1, 3, v20
	v_lshl_or_b32 v6, v6, 9, 0x7c00
	s_wait_alu 0xf1ff
	s_delay_alu instid0(VALU_DEP_3) | instskip(SKIP_3) | instid1(VALU_DEP_4)
	v_cndmask_b32_e64 v10, 0, 1, s0
	v_cmp_lt_i32_e64 s0, 5, v20
	v_sub_nc_u32_e32 v20, 0x3f1, v25
	v_cndmask_b32_e64 v21, v23, v6, s2
	v_and_or_b32 v10, 0xffe, v24, v10
	v_lshrrev_b32_e32 v6, 2, v8
	s_delay_alu instid0(VALU_DEP_4)
	v_med3_i32 v20, v20, 0, 13
	s_or_b32 s0, s1, s0
	v_lshrrev_b32_e32 v24, 16, v7
	v_or_b32_e32 v8, 0x1000, v10
	s_wait_alu 0xfffe
	v_add_co_ci_u32_e64 v6, s0, 0, v6, s0
	v_cmp_gt_i32_e64 s0, 31, v19
	v_and_or_b32 v21, 0x8000, v24, v21
	v_lshrrev_b32_e32 v23, v20, v8
	s_wait_alu 0xf1ff
	s_delay_alu instid0(VALU_DEP_3) | instskip(SKIP_1) | instid1(VALU_DEP_3)
	v_cndmask_b32_e64 v26, 0x7c00, v6, s0
	v_cmp_ne_u32_e64 s0, 0, v4
	v_lshlrev_b32_e32 v7, v20, v23
	v_fma_f16 v6, v73, v22, -v9
	v_and_or_b32 v9, 0x1ff, v15, v14
	v_add_nc_u32_e32 v14, 0xfffffc10, v25
	s_wait_alu 0xf1ff
	v_cndmask_b32_e64 v4, 0, 1, s0
	v_cmp_ne_u32_e64 s0, v7, v8
	v_cvt_f32_f16_e32 v6, v6
	v_lshrrev_b32_e32 v22, 8, v15
	v_bfe_u32 v25, v15, 20, 11
	v_lshl_or_b32 v4, v4, 9, 0x7c00
	s_wait_alu 0xf1ff
	v_cndmask_b32_e64 v8, 0, 1, s0
	v_cmp_ne_u32_e64 s0, 0, v9
	v_cvt_f64_f32_e32 v[6:7], v6
	v_and_b32_e32 v21, 0xffff, v21
	v_lshrrev_b32_e32 v15, 16, v15
	v_or_b32_e32 v23, v23, v8
	s_wait_alu 0xf1ff
	v_cndmask_b32_e64 v20, 0, 1, s0
	v_mul_f64_e32 v[8:9], s[8:9], v[16:17]
	v_lshl_or_b32 v16, v14, 12, v10
	v_sub_nc_u32_e32 v17, 0x3f1, v25
	v_cmp_gt_i32_e64 s0, 1, v14
	v_and_or_b32 v20, 0xffe, v22, v20
	s_delay_alu instid0(VALU_DEP_3) | instskip(SKIP_1) | instid1(VALU_DEP_3)
	v_med3_i32 v27, v17, 0, 13
	s_wait_alu 0xf1ff
	v_cndmask_b32_e64 v22, v16, v23, s0
	s_delay_alu instid0(VALU_DEP_3)
	v_or_b32_e32 v23, 0x1000, v20
	ds_load_2addr_b32 v[16:17], v57 offset0:126 offset1:147
	v_cmp_eq_u32_e64 s0, 0x40f, v19
	v_and_b32_e32 v24, 7, v22
	v_lshrrev_b32_e32 v19, v27, v23
	s_wait_alu 0xf1ff
	s_delay_alu instid0(VALU_DEP_3) | instskip(NEXT) | instid1(VALU_DEP_3)
	v_cndmask_b32_e64 v4, v26, v4, s0
	v_cmp_lt_i32_e64 s0, 5, v24
	v_cmp_eq_u32_e64 s1, 3, v24
	s_delay_alu instid0(VALU_DEP_3) | instskip(SKIP_2) | instid1(VALU_DEP_4)
	v_and_or_b32 v18, 0x8000, v5, v4
	v_lshlrev_b32_e32 v4, v27, v19
	v_lshrrev_b32_e32 v5, 2, v22
	s_or_b32 s0, s1, s0
	v_add_nc_u32_e32 v22, 0xfffffc10, v25
	v_lshl_or_b32 v21, v18, 16, v21
	v_cmp_ne_u32_e64 s2, v4, v23
	s_wait_alu 0xfffe
	v_add_co_ci_u32_e64 v23, s0, 0, v5, s0
	s_wait_dscnt 0x0
	v_lshrrev_b32_e32 v24, 16, v16
	v_cmp_ne_u32_e64 s0, 0, v10
	s_wait_alu 0xf1ff
	v_cndmask_b32_e64 v4, 0, 1, s2
	v_lshl_or_b32 v25, v22, 12, v20
	v_cmp_eq_u32_e64 s2, 0x40f, v14
	v_cndmask_b32_e64 v10, 0, 1, s0
	s_delay_alu instid0(VALU_DEP_4)
	v_or_b32_e32 v19, v19, v4
	v_mul_f64_e32 v[4:5], s[8:9], v[6:7]
	v_mul_f16_e32 v6, v72, v24
	v_cmp_gt_i32_e64 s0, 1, v22
	v_and_or_b32 v7, 0x1ff, v9, v8
	v_lshl_or_b32 v10, v10, 9, 0x7c00
	v_lshrrev_b32_e32 v26, 8, v9
	v_fmac_f16_e32 v6, v70, v16
	s_wait_alu 0xf1ff
	v_cndmask_b32_e64 v19, v25, v19, s0
	v_cmp_gt_i32_e64 s0, 31, v14
	v_bfe_u32 v27, v9, 20, 11
	v_lshrrev_b32_e32 v9, 16, v9
	v_cvt_f32_f16_e32 v6, v6
	s_wait_alu 0xf1ff
	v_cndmask_b32_e64 v8, 0x7c00, v23, s0
	v_and_b32_e32 v23, 7, v19
	v_cmp_ne_u32_e64 s0, 0, v7
	v_cvt_f64_f32_e32 v[6:7], v6
	s_delay_alu instid0(VALU_DEP_4) | instskip(NEXT) | instid1(VALU_DEP_4)
	v_cndmask_b32_e64 v8, v8, v10, s2
	v_cmp_eq_u32_e64 s1, 3, v23
	s_wait_alu 0xf1ff
	v_cndmask_b32_e64 v25, 0, 1, s0
	v_cmp_lt_i32_e64 s0, 5, v23
	v_lshrrev_b32_e32 v10, 2, v19
	v_and_or_b32 v8, 0x8000, v11, v8
	s_delay_alu instid0(VALU_DEP_4) | instskip(SKIP_2) | instid1(VALU_DEP_3)
	v_and_or_b32 v23, 0xffe, v26, v25
	v_sub_nc_u32_e32 v25, 0x3f1, v27
	s_or_b32 s0, s1, s0
	v_and_b32_e32 v8, 0xffff, v8
	s_wait_alu 0xfffe
	v_add_co_ci_u32_e64 v10, s0, 0, v10, s0
	v_cmp_ne_u32_e64 s0, 0, v20
	v_or_b32_e32 v14, 0x1000, v23
	v_med3_i32 v19, v25, 0, 13
	s_wait_alu 0xf1ff
	s_delay_alu instid0(VALU_DEP_3) | instskip(SKIP_1) | instid1(VALU_DEP_3)
	v_cndmask_b32_e64 v20, 0, 1, s0
	v_cmp_gt_i32_e64 s0, 31, v22
	v_lshrrev_b32_e32 v25, v19, v14
	v_and_or_b32 v4, 0x1ff, v5, v4
	s_delay_alu instid0(VALU_DEP_4)
	v_lshl_or_b32 v20, v20, 9, 0x7c00
	s_wait_alu 0xf1ff
	v_cndmask_b32_e64 v10, 0x7c00, v10, s0
	v_cmp_eq_u32_e64 s0, 0x40f, v22
	v_lshlrev_b32_e32 v11, v19, v25
	s_wait_alu 0xf1ff
	s_delay_alu instid0(VALU_DEP_2) | instskip(SKIP_1) | instid1(VALU_DEP_3)
	v_cndmask_b32_e64 v18, v10, v20, s0
	v_mul_f16_e32 v10, v72, v16
	v_cmp_ne_u32_e64 s0, v11, v14
	v_lshrrev_b32_e32 v14, 8, v5
	v_bfe_u32 v16, v5, 20, 11
	v_add_nc_u32_e32 v20, 0xfffffc10, v27
	v_fma_f16 v10, v70, v24, -v10
	s_wait_alu 0xf1ff
	v_cndmask_b32_e64 v11, 0, 1, s0
	v_cmp_ne_u32_e64 s0, 0, v4
	v_mul_f64_e32 v[6:7], s[8:9], v[6:7]
	v_lshl_or_b32 v22, v20, 12, v23
	v_cvt_f32_f16_e32 v10, v10
	v_or_b32_e32 v19, v25, v11
	s_wait_alu 0xf1ff
	v_cndmask_b32_e64 v4, 0, 1, s0
	v_cmp_gt_i32_e64 s0, 1, v20
	v_and_or_b32 v15, 0x8000, v15, v18
	v_cvt_f64_f32_e32 v[10:11], v10
	s_delay_alu instid0(VALU_DEP_4)
	v_and_or_b32 v4, 0xffe, v14, v4
	v_sub_nc_u32_e32 v14, 0x3f1, v16
	s_wait_alu 0xf1ff
	v_cndmask_b32_e64 v18, v22, v19, s0
	v_add_co_u32 v0, s0, v0, s6
	v_or_b32_e32 v24, 0x1000, v4
	v_med3_i32 v14, v14, 0, 13
	s_wait_alu 0xf1ff
	v_add_co_ci_u32_e64 v1, s0, s7, v1, s0
	v_lshl_or_b32 v22, v15, 16, v8
	v_and_b32_e32 v8, 7, v18
	v_lshrrev_b32_e32 v19, v14, v24
	v_add_nc_u32_e32 v16, 0xfffffc10, v16
	s_delay_alu instid0(VALU_DEP_3) | instskip(NEXT) | instid1(VALU_DEP_3)
	v_cmp_eq_u32_e64 s1, 3, v8
	v_lshlrev_b32_e32 v25, v14, v19
	v_add_co_u32 v14, s0, v0, s6
	s_wait_alu 0xf1ff
	v_add_co_ci_u32_e64 v15, s0, s7, v1, s0
	v_cmp_lt_i32_e64 s0, 5, v8
	v_lshrrev_b32_e32 v8, 2, v18
	v_cmp_ne_u32_e64 s2, v25, v24
	v_lshrrev_b32_e32 v24, 16, v17
	s_delay_alu instid0(VALU_DEP_4)
	s_or_b32 s0, s1, s0
	s_wait_alu 0xfffe
	v_add_co_ci_u32_e64 v8, s0, 0, v8, s0
	v_cndmask_b32_e64 v18, 0, 1, s2
	v_cmp_ne_u32_e64 s0, 0, v23
	v_mul_f16_e32 v25, v71, v24
	v_and_or_b32 v6, 0x1ff, v7, v6
	v_lshrrev_b32_e32 v27, 8, v7
	v_or_b32_e32 v18, v19, v18
	v_lshl_or_b32 v19, v16, 12, v4
	s_wait_alu 0xf1ff
	v_cndmask_b32_e64 v23, 0, 1, s0
	v_cmp_gt_i32_e64 s0, 1, v16
	v_fmac_f16_e32 v25, v69, v17
	v_mul_f64_e32 v[10:11], s[8:9], v[10:11]
	v_bfe_u32 v28, v7, 20, 11
	v_lshl_or_b32 v23, v23, 9, 0x7c00
	s_wait_alu 0xf1ff
	v_cndmask_b32_e64 v26, v19, v18, s0
	v_cmp_gt_i32_e64 s0, 31, v20
	v_cvt_f32_f16_e32 v18, v25
	v_mul_f16_e32 v17, v71, v17
	s_delay_alu instid0(VALU_DEP_4)
	v_and_b32_e32 v25, 7, v26
	s_wait_alu 0xf1ff
	v_cndmask_b32_e64 v8, 0x7c00, v8, s0
	v_cmp_ne_u32_e64 s0, 0, v6
	v_cvt_f64_f32_e32 v[18:19], v18
	v_fma_f16 v17, v69, v24, -v17
	v_cmp_eq_u32_e64 s1, 3, v25
	s_wait_alu 0xf1ff
	v_cndmask_b32_e64 v6, 0, 1, s0
	v_cmp_eq_u32_e64 s0, 0x40f, v20
	v_sub_nc_u32_e32 v20, 0x3f1, v28
	v_cvt_f32_f16_e32 v17, v17
	s_delay_alu instid0(VALU_DEP_4)
	v_and_or_b32 v6, 0xffe, v27, v6
	s_wait_alu 0xf1ff
	v_cndmask_b32_e64 v8, v8, v23, s0
	v_cmp_lt_i32_e64 s0, 5, v25
	v_lshrrev_b32_e32 v23, 2, v26
	v_med3_i32 v20, v20, 0, 13
	v_or_b32_e32 v25, 0x1000, v6
	v_and_or_b32 v26, 0x8000, v9, v8
	s_or_b32 s0, s1, s0
	v_cvt_f64_f32_e32 v[8:9], v17
	s_wait_alu 0xfffe
	v_add_co_ci_u32_e64 v23, s0, 0, v23, s0
	v_cmp_ne_u32_e64 s0, 0, v4
	v_lshrrev_b32_e32 v24, v20, v25
	s_wait_alu 0xf1ff
	s_delay_alu instid0(VALU_DEP_2) | instskip(SKIP_1) | instid1(VALU_DEP_3)
	v_cndmask_b32_e64 v4, 0, 1, s0
	v_cmp_gt_i32_e64 s0, 31, v16
	v_lshlrev_b32_e32 v17, v20, v24
	v_bfe_u32 v29, v11, 20, 11
	s_delay_alu instid0(VALU_DEP_4) | instskip(SKIP_4) | instid1(VALU_DEP_1)
	v_lshl_or_b32 v4, v4, 9, 0x7c00
	s_wait_alu 0xf1ff
	v_cndmask_b32_e64 v23, 0x7c00, v23, s0
	v_cmp_eq_u32_e64 s0, 0x40f, v16
	s_wait_alu 0xf1ff
	v_cndmask_b32_e64 v20, v23, v4, s0
	v_and_or_b32 v4, 0x1ff, v11, v10
	v_cmp_ne_u32_e64 s0, v17, v25
	v_lshrrev_b32_e32 v10, 16, v5
	v_add_nc_u32_e32 v25, 0xfffffc10, v28
	v_lshrrev_b32_e32 v28, 8, v11
	ds_load_2addr_b32 v[16:17], v57 offset0:168 offset1:189
	s_wait_alu 0xf1ff
	v_cndmask_b32_e64 v23, 0, 1, s0
	v_cmp_ne_u32_e64 s0, 0, v4
	v_mul_f64_e32 v[4:5], s[8:9], v[18:19]
	v_and_or_b32 v10, 0x8000, v10, v20
	v_lshl_or_b32 v19, v25, 12, v6
	v_or_b32_e32 v18, v24, v23
	s_wait_alu 0xf1ff
	v_cndmask_b32_e64 v27, 0, 1, s0
	v_sub_nc_u32_e32 v23, 0x3f1, v29
	v_cmp_gt_i32_e64 s0, 1, v25
	s_clause 0x1
	global_store_b32 v[0:1], v21, off
	global_store_b32 v[14:15], v22, off
	v_and_b32_e32 v24, 0xffff, v26
	v_and_or_b32 v20, 0xffe, v28, v27
	v_med3_i32 v23, v23, 0, 13
	s_wait_alu 0xf1ff
	v_cndmask_b32_e64 v18, v19, v18, s0
	v_add_co_u32 v0, s0, v14, s6
	v_or_b32_e32 v19, 0x1000, v20
	s_wait_alu 0xf1ff
	v_add_co_ci_u32_e64 v1, s0, s7, v15, s0
	v_and_b32_e32 v21, 7, v18
	v_lshl_or_b32 v10, v10, 16, v24
	v_lshrrev_b32_e32 v22, v23, v19
	s_wait_dscnt 0x0
	v_lshrrev_b32_e32 v24, 16, v16
	v_mul_f64_e32 v[8:9], s[8:9], v[8:9]
	v_cmp_lt_i32_e64 s0, 5, v21
	v_cmp_eq_u32_e64 s1, 3, v21
	v_lshlrev_b32_e32 v14, v23, v22
	v_lshrrev_b32_e32 v18, 2, v18
	v_mul_f16_e32 v15, v68, v24
	v_lshrrev_b32_e32 v11, 16, v11
	s_or_b32 s0, s1, s0
	v_cmp_ne_u32_e64 s2, v14, v19
	s_wait_alu 0xfffe
	v_add_co_ci_u32_e64 v18, s0, 0, v18, s0
	v_add_nc_u32_e32 v19, 0xfffffc10, v29
	v_cmp_ne_u32_e64 s0, 0, v6
	s_wait_alu 0xf1ff
	v_cndmask_b32_e64 v14, 0, 1, s2
	v_fmac_f16_e32 v15, v67, v16
	v_mul_f16_e32 v16, v68, v16
	global_store_b32 v[0:1], v10, off
	v_and_or_b32 v4, 0x1ff, v5, v4
	v_or_b32_e32 v21, v22, v14
	v_lshl_or_b32 v22, v19, 12, v20
	v_cndmask_b32_e64 v6, 0, 1, s0
	v_cmp_gt_i32_e64 s0, 1, v19
	v_cvt_f32_f16_e32 v14, v15
	v_bfe_u32 v23, v5, 20, 11
	v_fma_f16 v16, v67, v24, -v16
	v_lshl_or_b32 v6, v6, 9, 0x7c00
	s_wait_alu 0xf1ff
	v_cndmask_b32_e64 v21, v22, v21, s0
	v_cmp_ne_u32_e64 s0, 0, v4
	v_cvt_f64_f32_e32 v[14:15], v14
	v_lshrrev_b32_e32 v22, 8, v5
	v_cvt_f32_f16_e32 v16, v16
	v_and_b32_e32 v26, 7, v21
	s_wait_alu 0xf1ff
	v_cndmask_b32_e64 v4, 0, 1, s0
	v_cmp_gt_i32_e64 s0, 31, v25
	v_lshrrev_b32_e32 v5, 16, v5
	v_cmp_eq_u32_e64 s1, 3, v26
	s_delay_alu instid0(VALU_DEP_4)
	v_and_or_b32 v4, 0xffe, v22, v4
	s_wait_alu 0xf1ff
	v_cndmask_b32_e64 v18, 0x7c00, v18, s0
	v_sub_nc_u32_e32 v22, 0x3f1, v23
	v_cmp_eq_u32_e64 s0, 0x40f, v25
	v_lshrrev_b32_e32 v25, 16, v7
	v_lshrrev_b32_e32 v7, 2, v21
	v_and_or_b32 v8, 0x1ff, v9, v8
	v_med3_i32 v22, v22, 0, 13
	s_wait_alu 0xf1ff
	v_cndmask_b32_e64 v18, v18, v6, s0
	v_or_b32_e32 v6, 0x1000, v4
	v_cmp_lt_i32_e64 s0, 5, v26
	v_bfe_u32 v24, v9, 20, 11
	v_add_nc_u32_e32 v23, 0xfffffc10, v23
	v_and_or_b32 v10, 0x8000, v25, v18
	v_lshrrev_b32_e32 v21, v22, v6
	s_or_b32 s0, s1, s0
	v_add_nc_u32_e32 v18, 0xfffffc10, v24
	s_wait_alu 0xfffe
	v_add_co_ci_u32_e64 v26, s0, 0, v7, s0
	v_lshlrev_b32_e32 v7, v22, v21
	v_cmp_ne_u32_e64 s0, 0, v8
	v_lshrrev_b32_e32 v22, 8, v9
	s_wait_alu 0xf1ff
	s_delay_alu instid0(VALU_DEP_2) | instskip(SKIP_2) | instid1(VALU_DEP_3)
	v_cndmask_b32_e64 v8, 0, 1, s0
	v_cmp_ne_u32_e64 s0, v7, v6
	v_mul_f64_e32 v[6:7], s[8:9], v[14:15]
	v_and_or_b32 v8, 0xffe, v22, v8
	s_wait_alu 0xf1ff
	s_delay_alu instid0(VALU_DEP_3) | instskip(SKIP_3) | instid1(VALU_DEP_4)
	v_cndmask_b32_e64 v27, 0, 1, s0
	v_cmp_ne_u32_e64 s0, 0, v20
	v_sub_nc_u32_e32 v22, 0x3f1, v24
	v_cvt_f64_f32_e32 v[14:15], v16
	v_or_b32_e32 v20, v21, v27
	s_wait_alu 0xf1ff
	v_cndmask_b32_e64 v16, 0, 1, s0
	v_cmp_gt_i32_e64 s0, 31, v19
	v_lshl_or_b32 v21, v23, 12, v4
	v_or_b32_e32 v27, 0x1000, v8
	v_med3_i32 v22, v22, 0, 13
	v_lshl_or_b32 v16, v16, 9, 0x7c00
	s_wait_alu 0xf1ff
	v_cndmask_b32_e64 v26, 0x7c00, v26, s0
	v_cmp_gt_i32_e64 s0, 1, v23
	s_wait_alu 0xf1ff
	s_delay_alu instid0(VALU_DEP_1) | instskip(SKIP_2) | instid1(VALU_DEP_3)
	v_cndmask_b32_e64 v20, v21, v20, s0
	v_lshrrev_b32_e32 v21, v22, v27
	v_cmp_eq_u32_e64 s0, 0x40f, v19
	v_and_b32_e32 v19, 7, v20
	s_delay_alu instid0(VALU_DEP_3) | instskip(SKIP_1) | instid1(VALU_DEP_3)
	v_lshlrev_b32_e32 v22, v22, v21
	s_wait_alu 0xf1ff
	v_cndmask_b32_e64 v16, v26, v16, s0
	s_delay_alu instid0(VALU_DEP_3) | instskip(NEXT) | instid1(VALU_DEP_3)
	v_cmp_lt_i32_e64 s0, 5, v19
	v_cmp_ne_u32_e64 s1, v22, v27
	s_delay_alu instid0(VALU_DEP_3) | instskip(SKIP_2) | instid1(VALU_DEP_3)
	v_and_or_b32 v16, 0x8000, v11, v16
	v_lshrrev_b32_e32 v22, 16, v17
	s_wait_alu 0xf1ff
	v_cndmask_b32_e64 v11, 0, 1, s1
	v_cmp_eq_u32_e64 s1, 3, v19
	v_and_b32_e32 v19, 0xffff, v10
	v_lshrrev_b32_e32 v10, 2, v20
	v_lshl_or_b32 v20, v18, 12, v8
	v_or_b32_e32 v11, v21, v11
	s_or_b32 s0, s1, s0
	v_and_or_b32 v6, 0x1ff, v7, v6
	s_wait_alu 0xfffe
	v_add_co_ci_u32_e64 v21, s0, 0, v10, s0
	v_cmp_ne_u32_e64 s0, 0, v4
	v_lshrrev_b32_e32 v24, 8, v7
	v_bfe_u32 v25, v7, 20, 11
	v_lshrrev_b32_e32 v7, 16, v7
	s_wait_alu 0xf1ff
	v_cndmask_b32_e64 v4, 0, 1, s0
	v_cmp_gt_i32_e64 s0, 1, v18
	s_delay_alu instid0(VALU_DEP_2) | instskip(SKIP_1) | instid1(VALU_DEP_2)
	v_lshl_or_b32 v4, v4, 9, 0x7c00
	s_wait_alu 0xf1ff
	v_cndmask_b32_e64 v20, v20, v11, s0
	v_cmp_gt_i32_e64 s0, 31, v23
	v_mul_f64_e32 v[10:11], s[8:9], v[14:15]
	v_mul_f16_e32 v15, v66, v22
	s_wait_alu 0xf1ff
	s_delay_alu instid0(VALU_DEP_3) | instskip(SKIP_1) | instid1(VALU_DEP_3)
	v_cndmask_b32_e64 v14, 0x7c00, v21, s0
	v_cmp_ne_u32_e64 s0, 0, v6
	v_fmac_f16_e32 v15, v65, v17
	v_and_b32_e32 v21, 7, v20
	v_lshrrev_b32_e32 v20, 2, v20
	s_wait_alu 0xf1ff
	v_cndmask_b32_e64 v6, 0, 1, s0
	v_cmp_eq_u32_e64 s0, 0x40f, v23
	v_cmp_eq_u32_e64 s1, 3, v21
	v_sub_nc_u32_e32 v23, 0x3f1, v25
	s_delay_alu instid0(VALU_DEP_4)
	v_and_or_b32 v6, 0xffe, v24, v6
	s_wait_alu 0xf1ff
	v_cndmask_b32_e64 v4, v14, v4, s0
	v_cvt_f32_f16_e32 v14, v15
	v_cmp_lt_i32_e64 s0, 5, v21
	v_med3_i32 v23, v23, 0, 13
	v_or_b32_e32 v21, 0x1000, v6
	v_and_or_b32 v26, 0x8000, v5, v4
	v_cvt_f64_f32_e32 v[14:15], v14
	s_or_b32 s0, s1, s0
	v_mul_f16_e32 v4, v66, v17
	s_wait_alu 0xfffe
	v_add_co_ci_u32_e64 v20, s0, 0, v20, s0
	v_cmp_ne_u32_e64 s0, 0, v8
	v_lshrrev_b32_e32 v24, v23, v21
	v_fma_f16 v4, v65, v22, -v4
	s_wait_alu 0xf1ff
	s_delay_alu instid0(VALU_DEP_3) | instskip(SKIP_3) | instid1(VALU_DEP_4)
	v_cndmask_b32_e64 v8, 0, 1, s0
	v_cmp_gt_i32_e64 s0, 31, v18
	v_lshlrev_b32_e32 v5, v23, v24
	v_cvt_f32_f16_e32 v4, v4
	v_lshl_or_b32 v8, v8, 9, 0x7c00
	s_wait_alu 0xf1ff
	v_cndmask_b32_e64 v20, 0x7c00, v20, s0
	v_cmp_eq_u32_e64 s0, 0x40f, v18
	v_lshrrev_b32_e32 v18, 16, v9
	s_wait_alu 0xf1ff
	s_delay_alu instid0(VALU_DEP_2)
	v_cndmask_b32_e64 v17, v20, v8, s0
	v_and_or_b32 v8, 0x1ff, v11, v10
	v_cmp_ne_u32_e64 s0, v5, v21
	v_cvt_f64_f32_e32 v[4:5], v4
	v_add_nc_u32_e32 v10, 0xfffffc10, v25
	v_lshrrev_b32_e32 v20, 8, v11
	v_bfe_u32 v21, v11, 20, 11
	s_wait_alu 0xf1ff
	v_cndmask_b32_e64 v9, 0, 1, s0
	v_cmp_ne_u32_e64 s0, 0, v8
	v_lshl_or_b32 v23, v10, 12, v6
	v_lshl_or_b32 v25, v16, 16, v19
	v_and_or_b32 v16, 0x8000, v18, v17
	v_or_b32_e32 v22, v24, v9
	s_wait_alu 0xf1ff
	v_cndmask_b32_e64 v8, 0, 1, s0
	v_sub_nc_u32_e32 v24, 0x3f1, v21
	v_cmp_gt_i32_e64 s0, 1, v10
	v_mul_f64_e32 v[14:15], s[8:9], v[14:15]
	v_and_b32_e32 v17, 0xffff, v26
	v_and_or_b32 v20, 0xffe, v20, v8
	ds_load_2addr_b32 v[8:9], v57 offset0:210 offset1:231
	s_wait_alu 0xf1ff
	v_cndmask_b32_e64 v22, v23, v22, s0
	v_med3_i32 v24, v24, 0, 13
	v_add_co_u32 v0, s0, v0, s6
	v_or_b32_e32 v23, 0x1000, v20
	s_delay_alu instid0(VALU_DEP_4)
	v_and_b32_e32 v18, 7, v22
	v_lshl_or_b32 v26, v16, 16, v17
	s_wait_alu 0xf1ff
	v_add_co_ci_u32_e64 v1, s0, s7, v1, s0
	v_lshrrev_b32_e32 v19, v24, v23
	v_cmp_lt_i32_e64 s0, 5, v18
	v_cmp_eq_u32_e64 s1, 3, v18
	v_lshrrev_b32_e32 v17, 2, v22
	v_add_nc_u32_e32 v21, 0xfffffc10, v21
	v_lshlrev_b32_e32 v16, v24, v19
	s_delay_alu instid0(VALU_DEP_4)
	s_or_b32 s0, s1, s0
	s_wait_alu 0xfffe
	v_add_co_ci_u32_e64 v17, s0, 0, v17, s0
	s_wait_dscnt 0x0
	v_lshrrev_b32_e32 v24, 16, v8
	v_cmp_ne_u32_e64 s2, v16, v23
	v_cmp_ne_u32_e64 s0, 0, v6
	v_mul_f64_e32 v[4:5], s[8:9], v[4:5]
	s_delay_alu instid0(VALU_DEP_4)
	v_mul_f16_e32 v18, v64, v24
	s_wait_alu 0xf1ff
	v_cndmask_b32_e64 v16, 0, 1, s2
	v_cndmask_b32_e64 v6, 0, 1, s0
	v_cmp_gt_i32_e64 s0, 1, v21
	v_fmac_f16_e32 v18, v63, v8
	s_delay_alu instid0(VALU_DEP_4)
	v_or_b32_e32 v16, v19, v16
	v_lshl_or_b32 v19, v21, 12, v20
	v_lshl_or_b32 v6, v6, 9, 0x7c00
	v_and_or_b32 v14, 0x1ff, v15, v14
	v_mul_f16_e32 v8, v64, v8
	s_wait_alu 0xf1ff
	v_cndmask_b32_e64 v22, v19, v16, s0
	v_cvt_f32_f16_e32 v16, v18
	v_cmp_gt_i32_e64 s0, 31, v10
	v_cmp_ne_u32_e64 s1, 0, v14
	v_lshrrev_b32_e32 v14, 8, v15
	v_and_b32_e32 v27, 7, v22
	v_lshrrev_b32_e32 v22, 2, v22
	s_wait_alu 0xf1ff
	v_cndmask_b32_e64 v23, 0x7c00, v17, s0
	v_cvt_f64_f32_e32 v[16:17], v16
	v_add_co_u32 v18, s0, v0, s6
	s_wait_alu 0xf1ff
	v_add_co_ci_u32_e64 v19, s0, s7, v1, s0
	v_cmp_eq_u32_e64 s0, 0x40f, v10
	v_cndmask_b32_e64 v10, 0, 1, s1
	v_cmp_eq_u32_e64 s1, 3, v27
	v_fma_f16 v8, v63, v24, -v8
	global_store_b32 v[0:1], v25, off
	global_store_b32 v[18:19], v26, off
	s_wait_alu 0xf1ff
	v_cndmask_b32_e64 v6, v23, v6, s0
	v_cmp_lt_i32_e64 s0, 5, v27
	v_bfe_u32 v23, v15, 20, 11
	v_and_or_b32 v14, 0xffe, v14, v10
	v_cvt_f32_f16_e32 v8, v8
	v_and_or_b32 v28, 0x8000, v7, v6
	s_or_b32 s0, s1, s0
	v_sub_nc_u32_e32 v10, 0x3f1, v23
	s_wait_alu 0xfffe
	v_add_co_ci_u32_e64 v22, s0, 0, v22, s0
	v_cmp_ne_u32_e64 s0, 0, v20
	v_or_b32_e32 v27, 0x1000, v14
	v_med3_i32 v10, v10, 0, 13
	v_and_or_b32 v4, 0x1ff, v5, v4
	v_add_nc_u32_e32 v23, 0xfffffc10, v23
	s_wait_alu 0xf1ff
	v_cndmask_b32_e64 v20, 0, 1, s0
	v_cmp_gt_i32_e64 s0, 31, v21
	v_lshrrev_b32_e32 v29, v10, v27
	v_lshrrev_b32_e32 v15, 16, v15
	v_cmp_eq_u32_e64 s2, 0x40f, v23
	v_lshl_or_b32 v20, v20, 9, 0x7c00
	s_wait_alu 0xf1ff
	v_cndmask_b32_e64 v22, 0x7c00, v22, s0
	v_cmp_eq_u32_e64 s0, 0x40f, v21
	v_lshrrev_b32_e32 v21, 16, v11
	v_lshlrev_b32_e32 v10, v10, v29
	v_lshrrev_b32_e32 v11, 8, v5
	s_wait_alu 0xf1ff
	v_cndmask_b32_e64 v20, v22, v20, s0
	v_cmp_ne_u32_e64 s0, 0, v4
	v_bfe_u32 v22, v5, 20, 11
	v_mul_f64_e32 v[6:7], s[8:9], v[16:17]
	v_lshl_or_b32 v17, v23, 12, v14
	v_lshrrev_b32_e32 v5, 16, v5
	s_wait_alu 0xf1ff
	v_cndmask_b32_e64 v4, 0, 1, s0
	v_cmp_ne_u32_e64 s0, v10, v27
	s_delay_alu instid0(VALU_DEP_2) | instskip(SKIP_2) | instid1(VALU_DEP_3)
	v_and_or_b32 v4, 0xffe, v11, v4
	v_sub_nc_u32_e32 v11, 0x3f1, v22
	s_wait_alu 0xf1ff
	v_cndmask_b32_e64 v10, 0, 1, s0
	v_cmp_gt_i32_e64 s0, 1, v23
	v_or_b32_e32 v24, 0x1000, v4
	v_med3_i32 v27, v11, 0, 13
	s_delay_alu instid0(VALU_DEP_4)
	v_or_b32_e32 v16, v29, v10
	v_cvt_f64_f32_e32 v[10:11], v8
	v_and_or_b32 v8, 0x8000, v21, v20
	v_and_b32_e32 v20, 0xffff, v28
	v_lshrrev_b32_e32 v28, v27, v24
	s_wait_alu 0xf1ff
	v_cndmask_b32_e64 v21, v17, v16, s0
	v_add_co_u32 v16, s0, v18, s6
	v_lshl_or_b32 v20, v8, 16, v20
	v_lshlrev_b32_e32 v1, v27, v28
	s_delay_alu instid0(VALU_DEP_4)
	v_and_b32_e32 v0, 7, v21
	v_lshrrev_b32_e32 v8, 16, v9
	s_wait_alu 0xf1ff
	v_add_co_ci_u32_e64 v17, s0, s7, v19, s0
	v_cmp_ne_u32_e64 s1, v1, v24
	v_cmp_lt_i32_e64 s0, 5, v0
	v_add_nc_u32_e32 v18, 0xfffffc10, v22
	v_mul_f16_e32 v19, v62, v8
	s_wait_alu 0xf1ff
	v_cndmask_b32_e64 v1, 0, 1, s1
	v_cmp_eq_u32_e64 s1, 3, v0
	v_lshrrev_b32_e32 v0, 2, v21
	v_lshl_or_b32 v21, v18, 12, v4
	v_fmac_f16_e32 v19, v60, v9
	v_or_b32_e32 v1, v28, v1
	s_or_b32 s0, s1, s0
	v_and_or_b32 v6, 0x1ff, v7, v6
	s_wait_alu 0xfffe
	v_add_co_ci_u32_e64 v22, s0, 0, v0, s0
	v_cmp_gt_i32_e64 s0, 1, v18
	v_cvt_f32_f16_e32 v0, v19
	v_bfe_u32 v24, v7, 20, 11
	v_mul_f16_e32 v9, v62, v9
	s_wait_alu 0xf1ff
	v_cndmask_b32_e64 v19, v21, v1, s0
	v_cmp_ne_u32_e64 s0, 0, v6
	v_cvt_f64_f32_e32 v[0:1], v0
	v_lshrrev_b32_e32 v21, 8, v7
	v_fma_f16 v8, v60, v8, -v9
	v_mul_f64_e32 v[10:11], s[8:9], v[10:11]
	s_wait_alu 0xf1ff
	v_cndmask_b32_e64 v6, 0, 1, s0
	v_cmp_ne_u32_e64 s0, 0, v14
	v_and_b32_e32 v25, 7, v19
	v_lshrrev_b32_e32 v19, 2, v19
	v_cvt_f32_f16_e32 v8, v8
	v_and_or_b32 v6, 0xffe, v21, v6
	s_wait_alu 0xf1ff
	v_cndmask_b32_e64 v14, 0, 1, s0
	v_cmp_gt_i32_e64 s0, 31, v23
	v_sub_nc_u32_e32 v21, 0x3f1, v24
	v_cmp_eq_u32_e64 s1, 3, v25
	v_or_b32_e32 v26, 0x1000, v6
	v_lshl_or_b32 v14, v14, 9, 0x7c00
	s_wait_alu 0xf1ff
	v_cndmask_b32_e64 v22, 0x7c00, v22, s0
	v_cmp_lt_i32_e64 s0, 5, v25
	v_med3_i32 v21, v21, 0, 13
	s_delay_alu instid0(VALU_DEP_3) | instskip(NEXT) | instid1(VALU_DEP_3)
	v_cndmask_b32_e64 v14, v22, v14, s2
	s_or_b32 s0, s1, s0
	s_delay_alu instid0(VALU_DEP_2)
	v_lshrrev_b32_e32 v22, v21, v26
	s_wait_alu 0xfffe
	v_add_co_ci_u32_e64 v19, s0, 0, v19, s0
	v_cmp_ne_u32_e64 s0, 0, v4
	v_and_or_b32 v14, 0x8000, v15, v14
	v_lshlrev_b32_e32 v21, v21, v22
	s_wait_alu 0xf1ff
	s_delay_alu instid0(VALU_DEP_3) | instskip(SKIP_2) | instid1(VALU_DEP_3)
	v_cndmask_b32_e64 v4, 0, 1, s0
	v_cmp_gt_i32_e64 s0, 31, v18
	v_and_b32_e32 v14, 0xffff, v14
	v_lshl_or_b32 v4, v4, 9, 0x7c00
	s_wait_alu 0xf1ff
	s_delay_alu instid0(VALU_DEP_3) | instskip(SKIP_4) | instid1(VALU_DEP_3)
	v_cndmask_b32_e64 v19, 0x7c00, v19, s0
	v_cmp_ne_u32_e64 s0, v21, v26
	v_mul_f64_e32 v[0:1], s[8:9], v[0:1]
	v_and_or_b32 v10, 0x1ff, v11, v10
	s_wait_alu 0xf1ff
	v_cndmask_b32_e64 v15, 0, 1, s0
	v_cmp_eq_u32_e64 s0, 0x40f, v18
	v_add_nc_u32_e32 v18, 0xfffffc10, v24
	s_delay_alu instid0(VALU_DEP_3) | instskip(SKIP_1) | instid1(VALU_DEP_3)
	v_or_b32_e32 v15, v22, v15
	s_wait_alu 0xf1ff
	v_cndmask_b32_e64 v4, v19, v4, s0
	ds_load_b32 v19, v57 offset:1008
	v_lshl_or_b32 v21, v18, 12, v6
	v_cmp_gt_i32_e64 s0, 1, v18
	v_and_or_b32 v22, 0x8000, v5, v4
	v_cvt_f64_f32_e32 v[4:5], v8
	s_wait_alu 0xf1ff
	s_delay_alu instid0(VALU_DEP_3)
	v_cndmask_b32_e64 v9, v21, v15, s0
	v_cmp_ne_u32_e64 s0, 0, v10
	v_lshrrev_b32_e32 v15, 8, v11
	v_bfe_u32 v21, v11, 20, 11
	v_lshl_or_b32 v22, v22, 16, v14
	v_and_b32_e32 v23, 7, v9
	s_wait_alu 0xf1ff
	v_cndmask_b32_e64 v10, 0, 1, s0
	v_lshrrev_b32_e32 v9, 2, v9
	v_sub_nc_u32_e32 v8, 0x3f1, v21
	v_add_nc_u32_e32 v21, 0xfffffc10, v21
	v_cmp_lt_i32_e64 s0, 5, v23
	v_and_or_b32 v10, 0xffe, v15, v10
	v_cmp_eq_u32_e64 s1, 3, v23
	s_wait_dscnt 0x0
	v_lshrrev_b32_e32 v15, 16, v19
	v_med3_i32 v8, v8, 0, 13
	v_or_b32_e32 v24, 0x1000, v10
	s_or_b32 s0, s1, s0
	s_delay_alu instid0(VALU_DEP_3)
	v_mul_f16_e32 v25, v61, v15
	s_wait_alu 0xfffe
	v_add_co_ci_u32_e64 v9, s0, 0, v9, s0
	v_lshrrev_b32_e32 v14, v8, v24
	v_cmp_ne_u32_e64 s0, 0, v6
	v_fmac_f16_e32 v25, v59, v19
	v_and_or_b32 v0, 0x1ff, v1, v0
	v_mul_f16_e32 v19, v61, v19
	v_lshlrev_b32_e32 v23, v8, v14
	s_wait_alu 0xf1ff
	v_cndmask_b32_e64 v6, 0, 1, s0
	v_cvt_f32_f16_e32 v8, v25
	v_cmp_gt_i32_e64 s0, 31, v18
	v_fma_f16 v15, v59, v15, -v19
	v_lshl_or_b32 v19, v21, 12, v10
	v_lshl_or_b32 v6, v6, 9, 0x7c00
	s_wait_alu 0xf1ff
	v_cndmask_b32_e64 v25, 0x7c00, v9, s0
	v_cvt_f64_f32_e32 v[8:9], v8
	v_cmp_ne_u32_e64 s0, v23, v24
	v_lshrrev_b32_e32 v24, 8, v1
	v_mul_f64_e32 v[4:5], s[8:9], v[4:5]
	v_cvt_f32_f16_e32 v15, v15
	s_wait_alu 0xf1ff
	v_cndmask_b32_e64 v23, 0, 1, s0
	v_cmp_ne_u32_e64 s0, 0, v0
	s_delay_alu instid0(VALU_DEP_2) | instskip(SKIP_1) | instid1(VALU_DEP_2)
	v_or_b32_e32 v14, v14, v23
	s_wait_alu 0xf1ff
	v_cndmask_b32_e64 v0, 0, 1, s0
	v_bfe_u32 v23, v1, 20, 11
	v_cmp_gt_i32_e64 s0, 1, v21
	v_lshrrev_b32_e32 v1, 16, v1
	s_delay_alu instid0(VALU_DEP_4) | instskip(NEXT) | instid1(VALU_DEP_4)
	v_and_or_b32 v0, 0xffe, v24, v0
	v_sub_nc_u32_e32 v24, 0x3f1, v23
	s_wait_alu 0xf1ff
	v_cndmask_b32_e64 v19, v19, v14, s0
	v_cmp_eq_u32_e64 s0, 0x40f, v18
	v_cvt_f64_f32_e32 v[14:15], v15
	v_or_b32_e32 v26, 0x1000, v0
	v_med3_i32 v24, v24, 0, 13
	v_and_b32_e32 v27, 7, v19
	s_wait_alu 0xf1ff
	v_cndmask_b32_e64 v18, v25, v6, s0
	v_add_co_u32 v6, s0, v16, s6
	v_lshrrev_b32_e32 v28, v24, v26
	v_lshrrev_b32_e32 v25, 16, v7
	s_wait_alu 0xf1ff
	v_add_co_ci_u32_e64 v7, s0, s7, v17, s0
	v_cmp_lt_i32_e64 s0, 5, v27
	v_cmp_eq_u32_e64 s1, 3, v27
	v_lshrrev_b32_e32 v19, 2, v19
	v_lshlrev_b32_e32 v24, v24, v28
	v_add_nc_u32_e32 v23, 0xfffffc10, v23
	v_and_or_b32 v18, 0x8000, v25, v18
	s_or_b32 s0, s1, s0
	v_mul_f64_e32 v[8:9], s[8:9], v[8:9]
	s_wait_alu 0xfffe
	v_add_co_ci_u32_e64 v19, s0, 0, v19, s0
	v_cmp_ne_u32_e64 s2, v24, v26
	v_cmp_ne_u32_e64 s0, 0, v10
	v_lshl_or_b32 v25, v23, 12, v0
	v_and_or_b32 v4, 0x1ff, v5, v4
	v_and_b32_e32 v18, 0xffff, v18
	s_wait_alu 0xf1ff
	v_cndmask_b32_e64 v24, 0, 1, s2
	v_cndmask_b32_e64 v10, 0, 1, s0
	v_cmp_gt_i32_e64 s0, 31, v21
	v_lshrrev_b32_e32 v26, 8, v5
	s_delay_alu instid0(VALU_DEP_4) | instskip(NEXT) | instid1(VALU_DEP_4)
	v_or_b32_e32 v24, v28, v24
	v_lshl_or_b32 v10, v10, 9, 0x7c00
	s_wait_alu 0xf1ff
	v_cndmask_b32_e64 v19, 0x7c00, v19, s0
	v_cmp_gt_i32_e64 s0, 1, v23
	s_wait_alu 0xf1ff
	s_delay_alu instid0(VALU_DEP_1) | instskip(SKIP_2) | instid1(VALU_DEP_3)
	v_cndmask_b32_e64 v24, v25, v24, s0
	v_cmp_eq_u32_e64 s0, 0x40f, v21
	v_lshrrev_b32_e32 v21, 16, v11
	v_and_b32_e32 v25, 7, v24
	s_wait_alu 0xf1ff
	s_delay_alu instid0(VALU_DEP_3)
	v_cndmask_b32_e64 v19, v19, v10, s0
	v_cmp_ne_u32_e64 s0, 0, v4
	v_mul_f64_e32 v[10:11], s[8:9], v[14:15]
	v_bfe_u32 v14, v5, 20, 11
	v_cmp_eq_u32_e64 s1, 3, v25
	v_and_or_b32 v15, 0x8000, v21, v19
	s_wait_alu 0xf1ff
	v_cndmask_b32_e64 v4, 0, 1, s0
	v_cmp_lt_i32_e64 s0, 5, v25
	v_sub_nc_u32_e32 v19, 0x3f1, v14
	v_add_nc_u32_e32 v14, 0xfffffc10, v14
	v_lshl_or_b32 v15, v15, 16, v18
	v_lshrrev_b32_e32 v18, 2, v24
	v_and_or_b32 v4, 0xffe, v26, v4
	s_or_b32 s0, s1, s0
	v_med3_i32 v19, v19, 0, 13
	v_and_or_b32 v8, 0x1ff, v9, v8
	s_wait_alu 0xfffe
	v_add_co_ci_u32_e64 v18, s0, 0, v18, s0
	v_or_b32_e32 v21, 0x1000, v4
	v_cmp_ne_u32_e64 s0, 0, v0
	v_lshrrev_b32_e32 v25, 8, v9
	v_bfe_u32 v26, v9, 20, 11
	v_lshrrev_b32_e32 v5, 16, v5
	v_lshrrev_b32_e32 v24, v19, v21
	s_wait_alu 0xf1ff
	v_cndmask_b32_e64 v0, 0, 1, s0
	v_cmp_gt_i32_e64 s0, 31, v23
	v_lshrrev_b32_e32 v9, 16, v9
	v_lshlrev_b32_e32 v19, v19, v24
	s_delay_alu instid0(VALU_DEP_4) | instskip(SKIP_4) | instid1(VALU_DEP_1)
	v_lshl_or_b32 v0, v0, 9, 0x7c00
	s_wait_alu 0xf1ff
	v_cndmask_b32_e64 v18, 0x7c00, v18, s0
	v_cmp_ne_u32_e64 s0, 0, v8
	s_wait_alu 0xf1ff
	v_cndmask_b32_e64 v8, 0, 1, s0
	v_cmp_ne_u32_e64 s0, v19, v21
	v_sub_nc_u32_e32 v21, 0x3f1, v26
	v_and_or_b32 v10, 0x1ff, v11, v10
	s_delay_alu instid0(VALU_DEP_4)
	v_and_or_b32 v8, 0xffe, v25, v8
	s_wait_alu 0xf1ff
	v_cndmask_b32_e64 v19, 0, 1, s0
	v_cmp_eq_u32_e64 s0, 0x40f, v23
	v_med3_i32 v21, v21, 0, 13
	v_bfe_u32 v25, v11, 20, 11
	v_or_b32_e32 v23, 0x1000, v8
	s_wait_alu 0xf1ff
	v_cndmask_b32_e64 v0, v18, v0, s0
	v_or_b32_e32 v18, v24, v19
	v_lshl_or_b32 v19, v14, 12, v4
	v_cmp_gt_i32_e64 s0, 1, v14
	v_lshrrev_b32_e32 v24, 8, v11
	v_and_or_b32 v0, 0x8000, v1, v0
	s_wait_alu 0xf1ff
	s_delay_alu instid0(VALU_DEP_3) | instskip(SKIP_3) | instid1(VALU_DEP_4)
	v_cndmask_b32_e64 v18, v19, v18, s0
	v_lshrrev_b32_e32 v19, v21, v23
	v_cmp_ne_u32_e64 s0, 0, v10
	v_and_b32_e32 v0, 0xffff, v0
	v_and_b32_e32 v27, 7, v18
	s_delay_alu instid0(VALU_DEP_4)
	v_lshlrev_b32_e32 v21, v21, v19
	s_wait_alu 0xf1ff
	v_cndmask_b32_e64 v10, 0, 1, s0
	v_lshrrev_b32_e32 v18, 2, v18
	v_cmp_lt_i32_e64 s0, 5, v27
	v_cmp_ne_u32_e64 s1, v21, v23
	s_delay_alu instid0(VALU_DEP_4)
	v_and_or_b32 v1, 0xffe, v24, v10
	v_sub_nc_u32_e32 v10, 0x3f1, v25
	v_add_nc_u32_e32 v24, 0xfffffc10, v26
	s_wait_alu 0xf1ff
	v_cndmask_b32_e64 v21, 0, 1, s1
	v_cmp_eq_u32_e64 s1, 3, v27
	v_or_b32_e32 v23, 0x1000, v1
	v_med3_i32 v10, v10, 0, 13
	v_lshl_or_b32 v26, v24, 12, v8
	v_or_b32_e32 v19, v19, v21
	s_or_b32 s0, s1, s0
	s_wait_alu 0xfffe
	v_add_co_ci_u32_e64 v18, s0, 0, v18, s0
	v_lshrrev_b32_e32 v21, v10, v23
	v_cmp_gt_i32_e64 s0, 1, v24
	s_delay_alu instid0(VALU_DEP_2) | instskip(SKIP_1) | instid1(VALU_DEP_2)
	v_lshlrev_b32_e32 v10, v10, v21
	s_wait_alu 0xf1ff
	v_cndmask_b32_e64 v19, v26, v19, s0
	v_cmp_ne_u32_e64 s0, 0, v4
	s_wait_alu 0xf1ff
	s_delay_alu instid0(VALU_DEP_1) | instskip(SKIP_3) | instid1(VALU_DEP_4)
	v_cndmask_b32_e64 v4, 0, 1, s0
	v_cmp_ne_u32_e64 s0, v10, v23
	v_add_nc_u32_e32 v23, 0xfffffc10, v25
	v_and_b32_e32 v25, 7, v19
	v_lshl_or_b32 v4, v4, 9, 0x7c00
	s_wait_alu 0xf1ff
	v_cndmask_b32_e64 v10, 0, 1, s0
	v_cmp_gt_i32_e64 s0, 31, v14
	v_cmp_gt_i32_e64 s2, 1, v23
	v_cmp_eq_u32_e64 s1, 3, v25
	s_delay_alu instid0(VALU_DEP_4) | instskip(SKIP_4) | instid1(VALU_DEP_3)
	v_or_b32_e32 v10, v21, v10
	v_lshl_or_b32 v21, v23, 12, v1
	s_wait_alu 0xf1ff
	v_cndmask_b32_e64 v18, 0x7c00, v18, s0
	v_cmp_lt_i32_e64 s0, 5, v25
	v_cndmask_b32_e64 v10, v21, v10, s2
	v_cmp_eq_u32_e64 s2, 0x40f, v14
	v_lshrrev_b32_e32 v14, 2, v19
	s_delay_alu instid0(VALU_DEP_4) | instskip(NEXT) | instid1(VALU_DEP_2)
	s_or_b32 s0, s1, s0
	v_cndmask_b32_e64 v4, v18, v4, s2
	s_wait_alu 0xfffe
	s_delay_alu instid0(VALU_DEP_2) | instskip(SKIP_4) | instid1(VALU_DEP_4)
	v_add_co_ci_u32_e64 v14, s0, 0, v14, s0
	v_and_b32_e32 v18, 7, v10
	v_cmp_ne_u32_e64 s0, 0, v8
	v_lshrrev_b32_e32 v10, 2, v10
	v_cmp_gt_i32_e64 s2, 31, v24
	v_cmp_eq_u32_e64 s1, 3, v18
	s_wait_alu 0xf1ff
	v_cndmask_b32_e64 v8, 0, 1, s0
	v_cmp_lt_i32_e64 s0, 5, v18
	v_cndmask_b32_e64 v14, 0x7c00, v14, s2
	s_delay_alu instid0(VALU_DEP_3) | instskip(NEXT) | instid1(VALU_DEP_3)
	v_lshl_or_b32 v8, v8, 9, 0x7c00
	s_or_b32 s0, s1, s0
	s_wait_alu 0xfffe
	v_add_co_ci_u32_e64 v10, s0, 0, v10, s0
	v_cmp_ne_u32_e64 s0, 0, v1
	s_wait_alu 0xf1ff
	s_delay_alu instid0(VALU_DEP_1) | instskip(SKIP_1) | instid1(VALU_DEP_2)
	v_cndmask_b32_e64 v1, 0, 1, s0
	v_cmp_eq_u32_e64 s0, 0x40f, v24
	v_lshl_or_b32 v1, v1, 9, 0x7c00
	s_wait_alu 0xf1ff
	s_delay_alu instid0(VALU_DEP_2) | instskip(SKIP_2) | instid1(VALU_DEP_3)
	v_cndmask_b32_e64 v8, v14, v8, s0
	v_cmp_gt_i32_e64 s0, 31, v23
	v_and_or_b32 v14, 0x8000, v5, v4
	v_and_or_b32 v8, 0x8000, v9, v8
	s_wait_alu 0xf1ff
	s_delay_alu instid0(VALU_DEP_3) | instskip(SKIP_3) | instid1(VALU_DEP_2)
	v_cndmask_b32_e64 v10, 0x7c00, v10, s0
	v_cmp_eq_u32_e64 s0, 0x40f, v23
	v_lshrrev_b32_e32 v9, 16, v11
	s_wait_alu 0xf1ff
	v_cndmask_b32_e64 v1, v10, v1, s0
	v_add_co_u32 v4, s0, v6, s6
	s_wait_alu 0xf1ff
	v_add_co_ci_u32_e64 v5, s0, s7, v7, s0
	v_lshl_or_b32 v10, v14, 16, v0
	v_and_or_b32 v0, 0x8000, v9, v1
	v_and_b32_e32 v1, 0xffff, v8
	v_add_co_u32 v8, s0, v4, s6
	s_wait_alu 0xf1ff
	v_add_co_ci_u32_e64 v9, s0, s7, v5, s0
	s_delay_alu instid0(VALU_DEP_3) | instskip(NEXT) | instid1(VALU_DEP_3)
	v_lshl_or_b32 v11, v0, 16, v1
	v_add_co_u32 v0, s0, v8, s6
	s_wait_alu 0xf1ff
	s_delay_alu instid0(VALU_DEP_3)
	v_add_co_ci_u32_e64 v1, s0, s7, v9, s0
	global_store_b32 v[16:17], v20, off
	global_store_b32 v[6:7], v22, off
	;; [unrolled: 1-line block ×5, first 2 shown]
	s_and_b32 exec_lo, exec_lo, vcc_lo
	s_cbranch_execz .LBB0_15
; %bb.14:
	global_load_b32 v6, v[12:13], off offset:52
	ds_load_2addr_b32 v[4:5], v57 offset0:13 offset1:34
	v_mad_co_u64_u32 v[0:1], null, 0xfffffc44, s4, v[0:1]
	s_wait_dscnt 0x0
	v_lshrrev_b32_e32 v7, 16, v4
	s_wait_loadcnt 0x0
	v_lshrrev_b32_e32 v8, 16, v6
	s_delay_alu instid0(VALU_DEP_1) | instskip(SKIP_1) | instid1(VALU_DEP_2)
	v_mul_f16_e32 v9, v7, v8
	v_mul_f16_e32 v8, v4, v8
	v_fmac_f16_e32 v9, v4, v6
	s_delay_alu instid0(VALU_DEP_2) | instskip(NEXT) | instid1(VALU_DEP_2)
	v_fma_f16 v4, v6, v7, -v8
	v_cvt_f32_f16_e32 v6, v9
	s_delay_alu instid0(VALU_DEP_2) | instskip(NEXT) | instid1(VALU_DEP_2)
	v_cvt_f32_f16_e32 v4, v4
	v_cvt_f64_f32_e32 v[6:7], v6
	s_delay_alu instid0(VALU_DEP_2) | instskip(NEXT) | instid1(VALU_DEP_2)
	v_cvt_f64_f32_e32 v[8:9], v4
	v_mul_f64_e32 v[6:7], s[8:9], v[6:7]
	s_delay_alu instid0(VALU_DEP_2) | instskip(NEXT) | instid1(VALU_DEP_2)
	v_mul_f64_e32 v[8:9], s[8:9], v[8:9]
	v_and_or_b32 v4, 0x1ff, v7, v6
	s_delay_alu instid0(VALU_DEP_2)
	v_and_or_b32 v8, 0x1ff, v9, v8
	v_lshrrev_b32_e32 v6, 8, v7
	v_bfe_u32 v10, v7, 20, 11
	v_lshrrev_b32_e32 v11, 8, v9
	v_cmp_ne_u32_e32 vcc_lo, 0, v4
	v_bfe_u32 v14, v9, 20, 11
	v_lshrrev_b32_e32 v7, 16, v7
	v_sub_nc_u32_e32 v15, 0x3f1, v10
	v_add_nc_u32_e32 v10, 0xfffffc10, v10
	s_wait_alu 0xfffd
	v_cndmask_b32_e64 v4, 0, 1, vcc_lo
	v_cmp_ne_u32_e32 vcc_lo, 0, v8
	v_lshrrev_b32_e32 v9, 16, v9
	s_delay_alu instid0(VALU_DEP_3) | instskip(SKIP_4) | instid1(VALU_DEP_3)
	v_and_or_b32 v4, 0xffe, v6, v4
	s_wait_alu 0xfffd
	v_cndmask_b32_e64 v8, 0, 1, vcc_lo
	v_sub_nc_u32_e32 v6, 0x3f1, v14
	v_add_nc_u32_e32 v14, 0xfffffc10, v14
	v_and_or_b32 v8, 0xffe, v11, v8
	v_med3_i32 v11, v15, 0, 13
	v_or_b32_e32 v15, 0x1000, v4
	v_med3_i32 v6, v6, 0, 13
	s_delay_alu instid0(VALU_DEP_4) | instskip(NEXT) | instid1(VALU_DEP_3)
	v_or_b32_e32 v16, 0x1000, v8
	v_lshrrev_b32_e32 v17, v11, v15
	s_delay_alu instid0(VALU_DEP_2) | instskip(NEXT) | instid1(VALU_DEP_2)
	v_lshrrev_b32_e32 v18, v6, v16
	v_lshlrev_b32_e32 v11, v11, v17
	s_delay_alu instid0(VALU_DEP_1) | instskip(SKIP_3) | instid1(VALU_DEP_1)
	v_cmp_ne_u32_e32 vcc_lo, v11, v15
	v_lshl_or_b32 v15, v10, 12, v4
	s_wait_alu 0xfffd
	v_cndmask_b32_e64 v11, 0, 1, vcc_lo
	v_or_b32_e32 v11, v17, v11
	v_lshlrev_b32_e32 v6, v6, v18
	s_delay_alu instid0(VALU_DEP_1) | instskip(SKIP_4) | instid1(VALU_DEP_2)
	v_cmp_ne_u32_e32 vcc_lo, v6, v16
	v_lshl_or_b32 v16, v14, 12, v8
	s_wait_alu 0xfffd
	v_cndmask_b32_e64 v6, 0, 1, vcc_lo
	v_cmp_gt_i32_e32 vcc_lo, 1, v10
	v_or_b32_e32 v6, v18, v6
	s_wait_alu 0xfffd
	v_cndmask_b32_e32 v11, v15, v11, vcc_lo
	v_cmp_gt_i32_e32 vcc_lo, 1, v14
	s_wait_alu 0xfffd
	s_delay_alu instid0(VALU_DEP_2) | instskip(SKIP_2) | instid1(VALU_DEP_3)
	v_dual_cndmask_b32 v6, v16, v6 :: v_dual_and_b32 v15, 7, v11
	v_cmp_ne_u32_e32 vcc_lo, 0, v4
	v_lshrrev_b32_e32 v11, 2, v11
	v_cmp_eq_u32_e64 s0, 3, v15
	s_wait_alu 0xfffd
	v_cndmask_b32_e64 v4, 0, 1, vcc_lo
	v_cmp_ne_u32_e32 vcc_lo, 0, v8
	s_delay_alu instid0(VALU_DEP_2) | instskip(SKIP_3) | instid1(VALU_DEP_2)
	v_lshl_or_b32 v4, v4, 9, 0x7c00
	s_wait_alu 0xfffd
	v_cndmask_b32_e64 v8, 0, 1, vcc_lo
	v_cmp_lt_i32_e32 vcc_lo, 5, v15
	v_lshl_or_b32 v8, v8, 9, 0x7c00
	s_or_b32 vcc_lo, s0, vcc_lo
	s_mul_i32 s0, s5, 0xfffffc44
	s_wait_alu 0xfffe
	v_add_co_ci_u32_e32 v11, vcc_lo, 0, v11, vcc_lo
	v_and_b32_e32 v16, 7, v6
	v_lshrrev_b32_e32 v6, 2, v6
	s_sub_co_i32 s0, s0, s4
	s_wait_alu 0xfffe
	v_add_nc_u32_e32 v1, s0, v1
	v_cmp_lt_i32_e64 s1, 5, v16
	v_cmp_eq_u32_e64 s2, 3, v16
	s_delay_alu instid0(VALU_DEP_1)
	s_or_b32 vcc_lo, s2, s1
	s_wait_alu 0xfffe
	v_add_co_ci_u32_e32 v6, vcc_lo, 0, v6, vcc_lo
	v_cmp_gt_i32_e32 vcc_lo, 31, v10
	s_wait_alu 0xfffd
	v_cndmask_b32_e32 v11, 0x7c00, v11, vcc_lo
	v_cmp_gt_i32_e32 vcc_lo, 31, v14
	s_wait_alu 0xfffd
	v_cndmask_b32_e32 v6, 0x7c00, v6, vcc_lo
	v_cmp_eq_u32_e32 vcc_lo, 0x40f, v10
	s_wait_alu 0xfffd
	v_cndmask_b32_e32 v4, v11, v4, vcc_lo
	v_cmp_eq_u32_e32 vcc_lo, 0x40f, v14
	s_delay_alu instid0(VALU_DEP_2) | instskip(SKIP_2) | instid1(VALU_DEP_2)
	v_and_or_b32 v4, 0x8000, v7, v4
	s_wait_alu 0xfffd
	v_cndmask_b32_e32 v6, v6, v8, vcc_lo
	v_and_b32_e32 v4, 0xffff, v4
	s_delay_alu instid0(VALU_DEP_2) | instskip(NEXT) | instid1(VALU_DEP_1)
	v_and_or_b32 v6, 0x8000, v9, v6
	v_lshl_or_b32 v4, v6, 16, v4
	v_lshrrev_b32_e32 v6, 16, v5
	global_store_b32 v[0:1], v4, off
	global_load_b32 v4, v[12:13], off offset:136
	s_wait_loadcnt 0x0
	v_lshrrev_b32_e32 v7, 16, v4
	s_delay_alu instid0(VALU_DEP_1) | instskip(SKIP_1) | instid1(VALU_DEP_2)
	v_mul_f16_e32 v8, v6, v7
	v_mul_f16_e32 v7, v5, v7
	v_fmac_f16_e32 v8, v5, v4
	s_delay_alu instid0(VALU_DEP_2) | instskip(NEXT) | instid1(VALU_DEP_2)
	v_fma_f16 v4, v4, v6, -v7
	v_cvt_f32_f16_e32 v5, v8
	s_delay_alu instid0(VALU_DEP_2) | instskip(NEXT) | instid1(VALU_DEP_2)
	v_cvt_f32_f16_e32 v6, v4
	v_cvt_f64_f32_e32 v[4:5], v5
	s_delay_alu instid0(VALU_DEP_2) | instskip(NEXT) | instid1(VALU_DEP_2)
	v_cvt_f64_f32_e32 v[6:7], v6
	v_mul_f64_e32 v[4:5], s[8:9], v[4:5]
	s_delay_alu instid0(VALU_DEP_2) | instskip(NEXT) | instid1(VALU_DEP_2)
	v_mul_f64_e32 v[6:7], s[8:9], v[6:7]
	v_and_or_b32 v4, 0x1ff, v5, v4
	s_delay_alu instid0(VALU_DEP_2)
	v_and_or_b32 v6, 0x1ff, v7, v6
	v_lshrrev_b32_e32 v8, 8, v5
	v_bfe_u32 v9, v5, 20, 11
	v_lshrrev_b32_e32 v10, 8, v7
	v_cmp_ne_u32_e32 vcc_lo, 0, v4
	v_bfe_u32 v11, v7, 20, 11
	v_lshrrev_b32_e32 v5, 16, v5
	v_sub_nc_u32_e32 v14, 0x3f1, v9
	v_add_nc_u32_e32 v9, 0xfffffc10, v9
	s_wait_alu 0xfffd
	v_cndmask_b32_e64 v4, 0, 1, vcc_lo
	v_cmp_ne_u32_e32 vcc_lo, 0, v6
	v_lshrrev_b32_e32 v7, 16, v7
	s_delay_alu instid0(VALU_DEP_3) | instskip(SKIP_3) | instid1(VALU_DEP_2)
	v_and_or_b32 v4, 0xffe, v8, v4
	s_wait_alu 0xfffd
	v_cndmask_b32_e64 v6, 0, 1, vcc_lo
	v_sub_nc_u32_e32 v8, 0x3f1, v11
	v_and_or_b32 v6, 0xffe, v10, v6
	v_med3_i32 v10, v14, 0, 13
	v_or_b32_e32 v14, 0x1000, v4
	s_delay_alu instid0(VALU_DEP_4) | instskip(NEXT) | instid1(VALU_DEP_4)
	v_med3_i32 v8, v8, 0, 13
	v_or_b32_e32 v15, 0x1000, v6
	s_delay_alu instid0(VALU_DEP_3) | instskip(NEXT) | instid1(VALU_DEP_2)
	v_lshrrev_b32_e32 v16, v10, v14
	v_lshrrev_b32_e32 v17, v8, v15
	s_delay_alu instid0(VALU_DEP_2) | instskip(NEXT) | instid1(VALU_DEP_2)
	v_lshlrev_b32_e32 v10, v10, v16
	v_lshlrev_b32_e32 v8, v8, v17
	s_delay_alu instid0(VALU_DEP_2) | instskip(SKIP_4) | instid1(VALU_DEP_2)
	v_cmp_ne_u32_e32 vcc_lo, v10, v14
	v_lshl_or_b32 v14, v9, 12, v4
	s_wait_alu 0xfffd
	v_cndmask_b32_e64 v10, 0, 1, vcc_lo
	v_cmp_ne_u32_e32 vcc_lo, v8, v15
	v_or_b32_e32 v10, v16, v10
	s_wait_alu 0xfffd
	v_cndmask_b32_e64 v8, 0, 1, vcc_lo
	v_cmp_gt_i32_e32 vcc_lo, 1, v9
	v_add_nc_u32_e32 v11, 0xfffffc10, v11
	s_delay_alu instid0(VALU_DEP_3) | instskip(SKIP_2) | instid1(VALU_DEP_3)
	v_or_b32_e32 v8, v17, v8
	s_wait_alu 0xfffd
	v_cndmask_b32_e32 v10, v14, v10, vcc_lo
	v_lshl_or_b32 v15, v11, 12, v6
	v_cmp_gt_i32_e32 vcc_lo, 1, v11
	s_delay_alu instid0(VALU_DEP_3)
	v_and_b32_e32 v14, 7, v10
	v_lshrrev_b32_e32 v10, 2, v10
	s_wait_alu 0xfffd
	v_cndmask_b32_e32 v8, v15, v8, vcc_lo
	v_cmp_ne_u32_e32 vcc_lo, 0, v4
	v_cmp_eq_u32_e64 s0, 3, v14
	s_wait_alu 0xfffd
	v_cndmask_b32_e64 v4, 0, 1, vcc_lo
	v_cmp_ne_u32_e32 vcc_lo, 0, v6
	s_delay_alu instid0(VALU_DEP_2) | instskip(SKIP_3) | instid1(VALU_DEP_2)
	v_lshl_or_b32 v4, v4, 9, 0x7c00
	s_wait_alu 0xfffd
	v_cndmask_b32_e64 v6, 0, 1, vcc_lo
	v_cmp_lt_i32_e32 vcc_lo, 5, v14
	v_lshl_or_b32 v6, v6, 9, 0x7c00
	s_or_b32 vcc_lo, s0, vcc_lo
	s_wait_alu 0xfffe
	v_add_co_ci_u32_e32 v10, vcc_lo, 0, v10, vcc_lo
	v_and_b32_e32 v15, 7, v8
	v_lshrrev_b32_e32 v8, 2, v8
	s_delay_alu instid0(VALU_DEP_2) | instskip(SKIP_1) | instid1(VALU_DEP_1)
	v_cmp_lt_i32_e64 s1, 5, v15
	v_cmp_eq_u32_e64 s2, 3, v15
	s_or_b32 vcc_lo, s2, s1
	s_wait_alu 0xfffe
	v_add_co_ci_u32_e32 v8, vcc_lo, 0, v8, vcc_lo
	v_cmp_gt_i32_e32 vcc_lo, 31, v9
	s_wait_alu 0xfffd
	v_cndmask_b32_e32 v10, 0x7c00, v10, vcc_lo
	v_cmp_gt_i32_e32 vcc_lo, 31, v11
	s_wait_alu 0xfffd
	v_cndmask_b32_e32 v8, 0x7c00, v8, vcc_lo
	v_cmp_eq_u32_e32 vcc_lo, 0x40f, v9
	s_wait_alu 0xfffd
	v_cndmask_b32_e32 v4, v10, v4, vcc_lo
	v_cmp_eq_u32_e32 vcc_lo, 0x40f, v11
	s_delay_alu instid0(VALU_DEP_2)
	v_and_or_b32 v4, 0x8000, v5, v4
	s_wait_alu 0xfffd
	v_cndmask_b32_e32 v6, v8, v6, vcc_lo
	v_add_co_u32 v0, vcc_lo, v0, s6
	s_wait_alu 0xfffd
	v_add_co_ci_u32_e32 v1, vcc_lo, s7, v1, vcc_lo
	s_delay_alu instid0(VALU_DEP_3) | instskip(SKIP_1) | instid1(VALU_DEP_1)
	v_and_or_b32 v5, 0x8000, v7, v6
	v_and_b32_e32 v4, 0xffff, v4
	v_lshl_or_b32 v4, v5, 16, v4
	global_store_b32 v[0:1], v4, off
	global_load_b32 v6, v[12:13], off offset:220
	ds_load_2addr_b32 v[4:5], v57 offset0:55 offset1:76
	s_wait_dscnt 0x0
	v_lshrrev_b32_e32 v7, 16, v4
	s_wait_loadcnt 0x0
	v_lshrrev_b32_e32 v8, 16, v6
	s_delay_alu instid0(VALU_DEP_1) | instskip(SKIP_1) | instid1(VALU_DEP_2)
	v_mul_f16_e32 v9, v7, v8
	v_mul_f16_e32 v8, v4, v8
	v_fmac_f16_e32 v9, v4, v6
	s_delay_alu instid0(VALU_DEP_2) | instskip(NEXT) | instid1(VALU_DEP_2)
	v_fma_f16 v4, v6, v7, -v8
	v_cvt_f32_f16_e32 v6, v9
	s_delay_alu instid0(VALU_DEP_2) | instskip(NEXT) | instid1(VALU_DEP_2)
	v_cvt_f32_f16_e32 v4, v4
	v_cvt_f64_f32_e32 v[6:7], v6
	s_delay_alu instid0(VALU_DEP_2) | instskip(NEXT) | instid1(VALU_DEP_2)
	v_cvt_f64_f32_e32 v[8:9], v4
	v_mul_f64_e32 v[6:7], s[8:9], v[6:7]
	s_delay_alu instid0(VALU_DEP_2) | instskip(NEXT) | instid1(VALU_DEP_2)
	v_mul_f64_e32 v[8:9], s[8:9], v[8:9]
	v_and_or_b32 v4, 0x1ff, v7, v6
	s_delay_alu instid0(VALU_DEP_2)
	v_and_or_b32 v8, 0x1ff, v9, v8
	v_lshrrev_b32_e32 v6, 8, v7
	v_bfe_u32 v10, v7, 20, 11
	v_lshrrev_b32_e32 v11, 8, v9
	v_cmp_ne_u32_e32 vcc_lo, 0, v4
	v_bfe_u32 v14, v9, 20, 11
	v_lshrrev_b32_e32 v7, 16, v7
	v_sub_nc_u32_e32 v15, 0x3f1, v10
	v_add_nc_u32_e32 v10, 0xfffffc10, v10
	s_wait_alu 0xfffd
	v_cndmask_b32_e64 v4, 0, 1, vcc_lo
	v_cmp_ne_u32_e32 vcc_lo, 0, v8
	v_lshrrev_b32_e32 v9, 16, v9
	s_delay_alu instid0(VALU_DEP_3) | instskip(SKIP_4) | instid1(VALU_DEP_3)
	v_and_or_b32 v4, 0xffe, v6, v4
	s_wait_alu 0xfffd
	v_cndmask_b32_e64 v8, 0, 1, vcc_lo
	v_sub_nc_u32_e32 v6, 0x3f1, v14
	v_add_nc_u32_e32 v14, 0xfffffc10, v14
	v_and_or_b32 v8, 0xffe, v11, v8
	v_med3_i32 v11, v15, 0, 13
	v_or_b32_e32 v15, 0x1000, v4
	v_med3_i32 v6, v6, 0, 13
	s_delay_alu instid0(VALU_DEP_4) | instskip(NEXT) | instid1(VALU_DEP_3)
	v_or_b32_e32 v16, 0x1000, v8
	v_lshrrev_b32_e32 v17, v11, v15
	s_delay_alu instid0(VALU_DEP_2) | instskip(NEXT) | instid1(VALU_DEP_2)
	v_lshrrev_b32_e32 v18, v6, v16
	v_lshlrev_b32_e32 v11, v11, v17
	s_delay_alu instid0(VALU_DEP_2) | instskip(NEXT) | instid1(VALU_DEP_2)
	v_lshlrev_b32_e32 v6, v6, v18
	v_cmp_ne_u32_e32 vcc_lo, v11, v15
	v_lshl_or_b32 v15, v10, 12, v4
	s_wait_alu 0xfffd
	v_cndmask_b32_e64 v11, 0, 1, vcc_lo
	v_cmp_ne_u32_e32 vcc_lo, v6, v16
	v_lshl_or_b32 v16, v14, 12, v8
	s_delay_alu instid0(VALU_DEP_3) | instskip(SKIP_3) | instid1(VALU_DEP_2)
	v_or_b32_e32 v11, v17, v11
	s_wait_alu 0xfffd
	v_cndmask_b32_e64 v6, 0, 1, vcc_lo
	v_cmp_gt_i32_e32 vcc_lo, 1, v10
	v_or_b32_e32 v6, v18, v6
	s_wait_alu 0xfffd
	v_cndmask_b32_e32 v11, v15, v11, vcc_lo
	v_cmp_gt_i32_e32 vcc_lo, 1, v14
	s_wait_alu 0xfffd
	s_delay_alu instid0(VALU_DEP_2) | instskip(SKIP_2) | instid1(VALU_DEP_3)
	v_dual_cndmask_b32 v6, v16, v6 :: v_dual_and_b32 v15, 7, v11
	v_cmp_ne_u32_e32 vcc_lo, 0, v4
	v_lshrrev_b32_e32 v11, 2, v11
	v_cmp_eq_u32_e64 s0, 3, v15
	s_delay_alu instid0(VALU_DEP_4)
	v_and_b32_e32 v16, 7, v6
	s_wait_alu 0xfffd
	v_cndmask_b32_e64 v4, 0, 1, vcc_lo
	v_cmp_ne_u32_e32 vcc_lo, 0, v8
	v_lshrrev_b32_e32 v6, 2, v6
	v_cmp_lt_i32_e64 s1, 5, v16
	v_cmp_eq_u32_e64 s2, 3, v16
	s_wait_alu 0xfffd
	v_cndmask_b32_e64 v8, 0, 1, vcc_lo
	v_cmp_lt_i32_e32 vcc_lo, 5, v15
	v_lshl_or_b32 v4, v4, 9, 0x7c00
	s_delay_alu instid0(VALU_DEP_3)
	v_lshl_or_b32 v8, v8, 9, 0x7c00
	s_or_b32 vcc_lo, s0, vcc_lo
	s_wait_alu 0xfffe
	v_add_co_ci_u32_e32 v11, vcc_lo, 0, v11, vcc_lo
	s_or_b32 vcc_lo, s2, s1
	s_wait_alu 0xfffe
	v_add_co_ci_u32_e32 v6, vcc_lo, 0, v6, vcc_lo
	v_cmp_gt_i32_e32 vcc_lo, 31, v10
	s_wait_alu 0xfffd
	v_cndmask_b32_e32 v11, 0x7c00, v11, vcc_lo
	v_cmp_gt_i32_e32 vcc_lo, 31, v14
	s_wait_alu 0xfffd
	v_cndmask_b32_e32 v6, 0x7c00, v6, vcc_lo
	v_cmp_eq_u32_e32 vcc_lo, 0x40f, v10
	s_wait_alu 0xfffd
	v_cndmask_b32_e32 v4, v11, v4, vcc_lo
	v_cmp_eq_u32_e32 vcc_lo, 0x40f, v14
	s_delay_alu instid0(VALU_DEP_2)
	v_and_or_b32 v4, 0x8000, v7, v4
	s_wait_alu 0xfffd
	v_cndmask_b32_e32 v6, v6, v8, vcc_lo
	v_add_co_u32 v0, vcc_lo, v0, s6
	s_wait_alu 0xfffd
	v_add_co_ci_u32_e32 v1, vcc_lo, s7, v1, vcc_lo
	s_delay_alu instid0(VALU_DEP_3) | instskip(SKIP_1) | instid1(VALU_DEP_1)
	v_and_or_b32 v6, 0x8000, v9, v6
	v_and_b32_e32 v4, 0xffff, v4
	v_lshl_or_b32 v4, v6, 16, v4
	v_lshrrev_b32_e32 v6, 16, v5
	global_store_b32 v[0:1], v4, off
	global_load_b32 v4, v[12:13], off offset:304
	s_wait_loadcnt 0x0
	v_lshrrev_b32_e32 v7, 16, v4
	s_delay_alu instid0(VALU_DEP_1) | instskip(SKIP_1) | instid1(VALU_DEP_2)
	v_mul_f16_e32 v8, v6, v7
	v_mul_f16_e32 v7, v5, v7
	v_fmac_f16_e32 v8, v5, v4
	s_delay_alu instid0(VALU_DEP_2) | instskip(NEXT) | instid1(VALU_DEP_2)
	v_fma_f16 v4, v4, v6, -v7
	v_cvt_f32_f16_e32 v5, v8
	s_delay_alu instid0(VALU_DEP_2) | instskip(NEXT) | instid1(VALU_DEP_2)
	v_cvt_f32_f16_e32 v6, v4
	v_cvt_f64_f32_e32 v[4:5], v5
	s_delay_alu instid0(VALU_DEP_2) | instskip(NEXT) | instid1(VALU_DEP_2)
	v_cvt_f64_f32_e32 v[6:7], v6
	v_mul_f64_e32 v[4:5], s[8:9], v[4:5]
	s_delay_alu instid0(VALU_DEP_2) | instskip(NEXT) | instid1(VALU_DEP_2)
	v_mul_f64_e32 v[6:7], s[8:9], v[6:7]
	v_and_or_b32 v4, 0x1ff, v5, v4
	s_delay_alu instid0(VALU_DEP_2)
	v_and_or_b32 v6, 0x1ff, v7, v6
	v_lshrrev_b32_e32 v8, 8, v5
	v_bfe_u32 v9, v5, 20, 11
	v_lshrrev_b32_e32 v10, 8, v7
	v_cmp_ne_u32_e32 vcc_lo, 0, v4
	v_bfe_u32 v11, v7, 20, 11
	v_lshrrev_b32_e32 v5, 16, v5
	v_sub_nc_u32_e32 v14, 0x3f1, v9
	v_add_nc_u32_e32 v9, 0xfffffc10, v9
	s_wait_alu 0xfffd
	v_cndmask_b32_e64 v4, 0, 1, vcc_lo
	v_cmp_ne_u32_e32 vcc_lo, 0, v6
	v_lshrrev_b32_e32 v7, 16, v7
	s_delay_alu instid0(VALU_DEP_3) | instskip(SKIP_4) | instid1(VALU_DEP_3)
	v_and_or_b32 v4, 0xffe, v8, v4
	s_wait_alu 0xfffd
	v_cndmask_b32_e64 v6, 0, 1, vcc_lo
	v_sub_nc_u32_e32 v8, 0x3f1, v11
	v_add_nc_u32_e32 v11, 0xfffffc10, v11
	v_and_or_b32 v6, 0xffe, v10, v6
	v_med3_i32 v10, v14, 0, 13
	v_or_b32_e32 v14, 0x1000, v4
	v_med3_i32 v8, v8, 0, 13
	s_delay_alu instid0(VALU_DEP_4) | instskip(NEXT) | instid1(VALU_DEP_3)
	v_or_b32_e32 v15, 0x1000, v6
	v_lshrrev_b32_e32 v16, v10, v14
	s_delay_alu instid0(VALU_DEP_2) | instskip(NEXT) | instid1(VALU_DEP_2)
	v_lshrrev_b32_e32 v17, v8, v15
	v_lshlrev_b32_e32 v10, v10, v16
	s_delay_alu instid0(VALU_DEP_2) | instskip(NEXT) | instid1(VALU_DEP_2)
	v_lshlrev_b32_e32 v8, v8, v17
	v_cmp_ne_u32_e32 vcc_lo, v10, v14
	v_lshl_or_b32 v14, v9, 12, v4
	s_wait_alu 0xfffd
	v_cndmask_b32_e64 v10, 0, 1, vcc_lo
	v_cmp_ne_u32_e32 vcc_lo, v8, v15
	v_lshl_or_b32 v15, v11, 12, v6
	s_delay_alu instid0(VALU_DEP_3) | instskip(SKIP_3) | instid1(VALU_DEP_2)
	v_or_b32_e32 v10, v16, v10
	s_wait_alu 0xfffd
	v_cndmask_b32_e64 v8, 0, 1, vcc_lo
	v_cmp_gt_i32_e32 vcc_lo, 1, v9
	v_or_b32_e32 v8, v17, v8
	s_wait_alu 0xfffd
	v_cndmask_b32_e32 v10, v14, v10, vcc_lo
	v_cmp_gt_i32_e32 vcc_lo, 1, v11
	s_delay_alu instid0(VALU_DEP_2)
	v_and_b32_e32 v14, 7, v10
	s_wait_alu 0xfffd
	v_cndmask_b32_e32 v8, v15, v8, vcc_lo
	v_cmp_ne_u32_e32 vcc_lo, 0, v4
	v_lshrrev_b32_e32 v10, 2, v10
	v_cmp_eq_u32_e64 s0, 3, v14
	s_delay_alu instid0(VALU_DEP_4)
	v_and_b32_e32 v15, 7, v8
	s_wait_alu 0xfffd
	v_cndmask_b32_e64 v4, 0, 1, vcc_lo
	v_cmp_ne_u32_e32 vcc_lo, 0, v6
	v_lshrrev_b32_e32 v8, 2, v8
	v_cmp_lt_i32_e64 s1, 5, v15
	v_cmp_eq_u32_e64 s2, 3, v15
	s_wait_alu 0xfffd
	v_cndmask_b32_e64 v6, 0, 1, vcc_lo
	v_cmp_lt_i32_e32 vcc_lo, 5, v14
	v_lshl_or_b32 v4, v4, 9, 0x7c00
	s_delay_alu instid0(VALU_DEP_3)
	v_lshl_or_b32 v6, v6, 9, 0x7c00
	s_or_b32 vcc_lo, s0, vcc_lo
	s_wait_alu 0xfffe
	v_add_co_ci_u32_e32 v10, vcc_lo, 0, v10, vcc_lo
	s_or_b32 vcc_lo, s2, s1
	s_wait_alu 0xfffe
	v_add_co_ci_u32_e32 v8, vcc_lo, 0, v8, vcc_lo
	v_cmp_gt_i32_e32 vcc_lo, 31, v9
	s_wait_alu 0xfffd
	v_cndmask_b32_e32 v10, 0x7c00, v10, vcc_lo
	v_cmp_gt_i32_e32 vcc_lo, 31, v11
	s_wait_alu 0xfffd
	v_cndmask_b32_e32 v8, 0x7c00, v8, vcc_lo
	v_cmp_eq_u32_e32 vcc_lo, 0x40f, v9
	s_wait_alu 0xfffd
	v_cndmask_b32_e32 v4, v10, v4, vcc_lo
	v_cmp_eq_u32_e32 vcc_lo, 0x40f, v11
	s_delay_alu instid0(VALU_DEP_2)
	v_and_or_b32 v4, 0x8000, v5, v4
	s_wait_alu 0xfffd
	v_cndmask_b32_e32 v6, v8, v6, vcc_lo
	v_add_co_u32 v0, vcc_lo, v0, s6
	s_wait_alu 0xfffd
	v_add_co_ci_u32_e32 v1, vcc_lo, s7, v1, vcc_lo
	s_delay_alu instid0(VALU_DEP_3) | instskip(SKIP_1) | instid1(VALU_DEP_1)
	v_and_or_b32 v5, 0x8000, v7, v6
	v_and_b32_e32 v4, 0xffff, v4
	v_lshl_or_b32 v4, v5, 16, v4
	global_store_b32 v[0:1], v4, off
	global_load_b32 v6, v[12:13], off offset:388
	ds_load_2addr_b32 v[4:5], v57 offset0:97 offset1:118
	s_wait_dscnt 0x0
	v_lshrrev_b32_e32 v7, 16, v4
	s_wait_loadcnt 0x0
	v_lshrrev_b32_e32 v8, 16, v6
	s_delay_alu instid0(VALU_DEP_1) | instskip(SKIP_1) | instid1(VALU_DEP_2)
	v_mul_f16_e32 v9, v7, v8
	v_mul_f16_e32 v8, v4, v8
	v_fmac_f16_e32 v9, v4, v6
	s_delay_alu instid0(VALU_DEP_2) | instskip(NEXT) | instid1(VALU_DEP_2)
	v_fma_f16 v4, v6, v7, -v8
	v_cvt_f32_f16_e32 v6, v9
	s_delay_alu instid0(VALU_DEP_2) | instskip(NEXT) | instid1(VALU_DEP_2)
	v_cvt_f32_f16_e32 v4, v4
	v_cvt_f64_f32_e32 v[6:7], v6
	s_delay_alu instid0(VALU_DEP_2) | instskip(NEXT) | instid1(VALU_DEP_2)
	v_cvt_f64_f32_e32 v[8:9], v4
	v_mul_f64_e32 v[6:7], s[8:9], v[6:7]
	s_delay_alu instid0(VALU_DEP_2) | instskip(NEXT) | instid1(VALU_DEP_2)
	v_mul_f64_e32 v[8:9], s[8:9], v[8:9]
	v_and_or_b32 v4, 0x1ff, v7, v6
	s_delay_alu instid0(VALU_DEP_2)
	v_and_or_b32 v8, 0x1ff, v9, v8
	v_lshrrev_b32_e32 v6, 8, v7
	v_bfe_u32 v10, v7, 20, 11
	v_lshrrev_b32_e32 v11, 8, v9
	v_cmp_ne_u32_e32 vcc_lo, 0, v4
	v_bfe_u32 v14, v9, 20, 11
	v_lshrrev_b32_e32 v7, 16, v7
	v_sub_nc_u32_e32 v15, 0x3f1, v10
	v_add_nc_u32_e32 v10, 0xfffffc10, v10
	s_wait_alu 0xfffd
	v_cndmask_b32_e64 v4, 0, 1, vcc_lo
	v_cmp_ne_u32_e32 vcc_lo, 0, v8
	v_lshrrev_b32_e32 v9, 16, v9
	s_delay_alu instid0(VALU_DEP_3) | instskip(SKIP_4) | instid1(VALU_DEP_3)
	v_and_or_b32 v4, 0xffe, v6, v4
	s_wait_alu 0xfffd
	v_cndmask_b32_e64 v8, 0, 1, vcc_lo
	v_sub_nc_u32_e32 v6, 0x3f1, v14
	v_add_nc_u32_e32 v14, 0xfffffc10, v14
	v_and_or_b32 v8, 0xffe, v11, v8
	v_med3_i32 v11, v15, 0, 13
	v_or_b32_e32 v15, 0x1000, v4
	v_med3_i32 v6, v6, 0, 13
	s_delay_alu instid0(VALU_DEP_4) | instskip(NEXT) | instid1(VALU_DEP_3)
	v_or_b32_e32 v16, 0x1000, v8
	v_lshrrev_b32_e32 v17, v11, v15
	s_delay_alu instid0(VALU_DEP_2) | instskip(NEXT) | instid1(VALU_DEP_2)
	v_lshrrev_b32_e32 v18, v6, v16
	v_lshlrev_b32_e32 v11, v11, v17
	s_delay_alu instid0(VALU_DEP_2) | instskip(NEXT) | instid1(VALU_DEP_2)
	v_lshlrev_b32_e32 v6, v6, v18
	v_cmp_ne_u32_e32 vcc_lo, v11, v15
	v_lshl_or_b32 v15, v10, 12, v4
	s_wait_alu 0xfffd
	v_cndmask_b32_e64 v11, 0, 1, vcc_lo
	v_cmp_ne_u32_e32 vcc_lo, v6, v16
	v_lshl_or_b32 v16, v14, 12, v8
	s_delay_alu instid0(VALU_DEP_3) | instskip(SKIP_3) | instid1(VALU_DEP_2)
	v_or_b32_e32 v11, v17, v11
	s_wait_alu 0xfffd
	v_cndmask_b32_e64 v6, 0, 1, vcc_lo
	v_cmp_gt_i32_e32 vcc_lo, 1, v10
	v_or_b32_e32 v6, v18, v6
	s_wait_alu 0xfffd
	v_cndmask_b32_e32 v11, v15, v11, vcc_lo
	v_cmp_gt_i32_e32 vcc_lo, 1, v14
	s_wait_alu 0xfffd
	s_delay_alu instid0(VALU_DEP_2) | instskip(SKIP_2) | instid1(VALU_DEP_3)
	v_dual_cndmask_b32 v6, v16, v6 :: v_dual_and_b32 v15, 7, v11
	v_cmp_ne_u32_e32 vcc_lo, 0, v4
	v_lshrrev_b32_e32 v11, 2, v11
	v_cmp_eq_u32_e64 s0, 3, v15
	s_delay_alu instid0(VALU_DEP_4)
	v_and_b32_e32 v16, 7, v6
	s_wait_alu 0xfffd
	v_cndmask_b32_e64 v4, 0, 1, vcc_lo
	v_cmp_ne_u32_e32 vcc_lo, 0, v8
	v_lshrrev_b32_e32 v6, 2, v6
	v_cmp_lt_i32_e64 s1, 5, v16
	v_cmp_eq_u32_e64 s2, 3, v16
	s_wait_alu 0xfffd
	v_cndmask_b32_e64 v8, 0, 1, vcc_lo
	v_cmp_lt_i32_e32 vcc_lo, 5, v15
	v_lshl_or_b32 v4, v4, 9, 0x7c00
	s_delay_alu instid0(VALU_DEP_3)
	v_lshl_or_b32 v8, v8, 9, 0x7c00
	s_or_b32 vcc_lo, s0, vcc_lo
	s_wait_alu 0xfffe
	v_add_co_ci_u32_e32 v11, vcc_lo, 0, v11, vcc_lo
	s_or_b32 vcc_lo, s2, s1
	s_wait_alu 0xfffe
	v_add_co_ci_u32_e32 v6, vcc_lo, 0, v6, vcc_lo
	v_cmp_gt_i32_e32 vcc_lo, 31, v10
	s_wait_alu 0xfffd
	v_cndmask_b32_e32 v11, 0x7c00, v11, vcc_lo
	v_cmp_gt_i32_e32 vcc_lo, 31, v14
	s_wait_alu 0xfffd
	v_cndmask_b32_e32 v6, 0x7c00, v6, vcc_lo
	v_cmp_eq_u32_e32 vcc_lo, 0x40f, v10
	s_wait_alu 0xfffd
	v_cndmask_b32_e32 v4, v11, v4, vcc_lo
	v_cmp_eq_u32_e32 vcc_lo, 0x40f, v14
	s_delay_alu instid0(VALU_DEP_2)
	v_and_or_b32 v4, 0x8000, v7, v4
	s_wait_alu 0xfffd
	v_cndmask_b32_e32 v6, v6, v8, vcc_lo
	v_add_co_u32 v0, vcc_lo, v0, s6
	s_wait_alu 0xfffd
	v_add_co_ci_u32_e32 v1, vcc_lo, s7, v1, vcc_lo
	s_delay_alu instid0(VALU_DEP_3) | instskip(SKIP_1) | instid1(VALU_DEP_1)
	v_and_or_b32 v6, 0x8000, v9, v6
	v_and_b32_e32 v4, 0xffff, v4
	v_lshl_or_b32 v4, v6, 16, v4
	v_lshrrev_b32_e32 v6, 16, v5
	global_store_b32 v[0:1], v4, off
	global_load_b32 v4, v[12:13], off offset:472
	s_wait_loadcnt 0x0
	v_lshrrev_b32_e32 v7, 16, v4
	s_delay_alu instid0(VALU_DEP_1) | instskip(SKIP_1) | instid1(VALU_DEP_2)
	v_mul_f16_e32 v8, v6, v7
	v_mul_f16_e32 v7, v5, v7
	v_fmac_f16_e32 v8, v5, v4
	s_delay_alu instid0(VALU_DEP_2) | instskip(NEXT) | instid1(VALU_DEP_2)
	v_fma_f16 v4, v4, v6, -v7
	v_cvt_f32_f16_e32 v5, v8
	s_delay_alu instid0(VALU_DEP_2) | instskip(NEXT) | instid1(VALU_DEP_2)
	v_cvt_f32_f16_e32 v6, v4
	v_cvt_f64_f32_e32 v[4:5], v5
	s_delay_alu instid0(VALU_DEP_2) | instskip(NEXT) | instid1(VALU_DEP_2)
	v_cvt_f64_f32_e32 v[6:7], v6
	v_mul_f64_e32 v[4:5], s[8:9], v[4:5]
	s_delay_alu instid0(VALU_DEP_2) | instskip(NEXT) | instid1(VALU_DEP_2)
	v_mul_f64_e32 v[6:7], s[8:9], v[6:7]
	v_and_or_b32 v4, 0x1ff, v5, v4
	s_delay_alu instid0(VALU_DEP_2)
	v_and_or_b32 v6, 0x1ff, v7, v6
	v_lshrrev_b32_e32 v8, 8, v5
	v_bfe_u32 v9, v5, 20, 11
	v_lshrrev_b32_e32 v10, 8, v7
	v_cmp_ne_u32_e32 vcc_lo, 0, v4
	v_bfe_u32 v11, v7, 20, 11
	v_lshrrev_b32_e32 v5, 16, v5
	v_sub_nc_u32_e32 v14, 0x3f1, v9
	v_add_nc_u32_e32 v9, 0xfffffc10, v9
	s_wait_alu 0xfffd
	v_cndmask_b32_e64 v4, 0, 1, vcc_lo
	v_cmp_ne_u32_e32 vcc_lo, 0, v6
	v_lshrrev_b32_e32 v7, 16, v7
	s_delay_alu instid0(VALU_DEP_3) | instskip(SKIP_4) | instid1(VALU_DEP_3)
	v_and_or_b32 v4, 0xffe, v8, v4
	s_wait_alu 0xfffd
	v_cndmask_b32_e64 v6, 0, 1, vcc_lo
	v_sub_nc_u32_e32 v8, 0x3f1, v11
	v_add_nc_u32_e32 v11, 0xfffffc10, v11
	v_and_or_b32 v6, 0xffe, v10, v6
	v_med3_i32 v10, v14, 0, 13
	v_or_b32_e32 v14, 0x1000, v4
	v_med3_i32 v8, v8, 0, 13
	s_delay_alu instid0(VALU_DEP_4) | instskip(NEXT) | instid1(VALU_DEP_3)
	v_or_b32_e32 v15, 0x1000, v6
	v_lshrrev_b32_e32 v16, v10, v14
	s_delay_alu instid0(VALU_DEP_2) | instskip(NEXT) | instid1(VALU_DEP_2)
	v_lshrrev_b32_e32 v17, v8, v15
	v_lshlrev_b32_e32 v10, v10, v16
	s_delay_alu instid0(VALU_DEP_2) | instskip(NEXT) | instid1(VALU_DEP_2)
	v_lshlrev_b32_e32 v8, v8, v17
	v_cmp_ne_u32_e32 vcc_lo, v10, v14
	v_lshl_or_b32 v14, v9, 12, v4
	s_wait_alu 0xfffd
	v_cndmask_b32_e64 v10, 0, 1, vcc_lo
	v_cmp_ne_u32_e32 vcc_lo, v8, v15
	v_lshl_or_b32 v15, v11, 12, v6
	s_delay_alu instid0(VALU_DEP_3) | instskip(SKIP_3) | instid1(VALU_DEP_2)
	v_or_b32_e32 v10, v16, v10
	s_wait_alu 0xfffd
	v_cndmask_b32_e64 v8, 0, 1, vcc_lo
	v_cmp_gt_i32_e32 vcc_lo, 1, v9
	v_or_b32_e32 v8, v17, v8
	s_wait_alu 0xfffd
	v_cndmask_b32_e32 v10, v14, v10, vcc_lo
	v_cmp_gt_i32_e32 vcc_lo, 1, v11
	s_delay_alu instid0(VALU_DEP_2)
	v_and_b32_e32 v14, 7, v10
	s_wait_alu 0xfffd
	v_cndmask_b32_e32 v8, v15, v8, vcc_lo
	v_cmp_ne_u32_e32 vcc_lo, 0, v4
	v_lshrrev_b32_e32 v10, 2, v10
	v_cmp_eq_u32_e64 s0, 3, v14
	s_delay_alu instid0(VALU_DEP_4)
	v_and_b32_e32 v15, 7, v8
	s_wait_alu 0xfffd
	v_cndmask_b32_e64 v4, 0, 1, vcc_lo
	v_cmp_ne_u32_e32 vcc_lo, 0, v6
	v_lshrrev_b32_e32 v8, 2, v8
	v_cmp_lt_i32_e64 s1, 5, v15
	v_cmp_eq_u32_e64 s2, 3, v15
	s_wait_alu 0xfffd
	v_cndmask_b32_e64 v6, 0, 1, vcc_lo
	v_cmp_lt_i32_e32 vcc_lo, 5, v14
	v_lshl_or_b32 v4, v4, 9, 0x7c00
	s_delay_alu instid0(VALU_DEP_3)
	v_lshl_or_b32 v6, v6, 9, 0x7c00
	s_or_b32 vcc_lo, s0, vcc_lo
	s_wait_alu 0xfffe
	v_add_co_ci_u32_e32 v10, vcc_lo, 0, v10, vcc_lo
	s_or_b32 vcc_lo, s2, s1
	s_wait_alu 0xfffe
	v_add_co_ci_u32_e32 v8, vcc_lo, 0, v8, vcc_lo
	v_cmp_gt_i32_e32 vcc_lo, 31, v9
	s_wait_alu 0xfffd
	v_cndmask_b32_e32 v10, 0x7c00, v10, vcc_lo
	v_cmp_gt_i32_e32 vcc_lo, 31, v11
	s_wait_alu 0xfffd
	v_cndmask_b32_e32 v8, 0x7c00, v8, vcc_lo
	v_cmp_eq_u32_e32 vcc_lo, 0x40f, v9
	s_wait_alu 0xfffd
	v_cndmask_b32_e32 v4, v10, v4, vcc_lo
	v_cmp_eq_u32_e32 vcc_lo, 0x40f, v11
	s_delay_alu instid0(VALU_DEP_2)
	v_and_or_b32 v4, 0x8000, v5, v4
	s_wait_alu 0xfffd
	v_cndmask_b32_e32 v6, v8, v6, vcc_lo
	v_add_co_u32 v0, vcc_lo, v0, s6
	s_wait_alu 0xfffd
	v_add_co_ci_u32_e32 v1, vcc_lo, s7, v1, vcc_lo
	s_delay_alu instid0(VALU_DEP_3) | instskip(SKIP_1) | instid1(VALU_DEP_1)
	v_and_or_b32 v5, 0x8000, v7, v6
	v_and_b32_e32 v4, 0xffff, v4
	v_lshl_or_b32 v4, v5, 16, v4
	global_store_b32 v[0:1], v4, off
	global_load_b32 v6, v[12:13], off offset:556
	ds_load_2addr_b32 v[4:5], v57 offset0:139 offset1:160
	s_wait_dscnt 0x0
	v_lshrrev_b32_e32 v7, 16, v4
	s_wait_loadcnt 0x0
	v_lshrrev_b32_e32 v8, 16, v6
	s_delay_alu instid0(VALU_DEP_1) | instskip(SKIP_1) | instid1(VALU_DEP_2)
	v_mul_f16_e32 v9, v7, v8
	v_mul_f16_e32 v8, v4, v8
	v_fmac_f16_e32 v9, v4, v6
	s_delay_alu instid0(VALU_DEP_2) | instskip(NEXT) | instid1(VALU_DEP_2)
	v_fma_f16 v4, v6, v7, -v8
	v_cvt_f32_f16_e32 v6, v9
	s_delay_alu instid0(VALU_DEP_2) | instskip(NEXT) | instid1(VALU_DEP_2)
	v_cvt_f32_f16_e32 v4, v4
	v_cvt_f64_f32_e32 v[6:7], v6
	s_delay_alu instid0(VALU_DEP_2) | instskip(NEXT) | instid1(VALU_DEP_2)
	v_cvt_f64_f32_e32 v[8:9], v4
	v_mul_f64_e32 v[6:7], s[8:9], v[6:7]
	s_delay_alu instid0(VALU_DEP_2) | instskip(NEXT) | instid1(VALU_DEP_2)
	v_mul_f64_e32 v[8:9], s[8:9], v[8:9]
	v_and_or_b32 v4, 0x1ff, v7, v6
	s_delay_alu instid0(VALU_DEP_2)
	v_and_or_b32 v8, 0x1ff, v9, v8
	v_lshrrev_b32_e32 v6, 8, v7
	v_bfe_u32 v10, v7, 20, 11
	v_lshrrev_b32_e32 v11, 8, v9
	v_cmp_ne_u32_e32 vcc_lo, 0, v4
	v_bfe_u32 v14, v9, 20, 11
	v_lshrrev_b32_e32 v7, 16, v7
	v_sub_nc_u32_e32 v15, 0x3f1, v10
	v_add_nc_u32_e32 v10, 0xfffffc10, v10
	s_wait_alu 0xfffd
	v_cndmask_b32_e64 v4, 0, 1, vcc_lo
	v_cmp_ne_u32_e32 vcc_lo, 0, v8
	v_lshrrev_b32_e32 v9, 16, v9
	s_delay_alu instid0(VALU_DEP_3) | instskip(SKIP_4) | instid1(VALU_DEP_3)
	v_and_or_b32 v4, 0xffe, v6, v4
	s_wait_alu 0xfffd
	v_cndmask_b32_e64 v8, 0, 1, vcc_lo
	v_sub_nc_u32_e32 v6, 0x3f1, v14
	v_add_nc_u32_e32 v14, 0xfffffc10, v14
	v_and_or_b32 v8, 0xffe, v11, v8
	v_med3_i32 v11, v15, 0, 13
	v_or_b32_e32 v15, 0x1000, v4
	v_med3_i32 v6, v6, 0, 13
	s_delay_alu instid0(VALU_DEP_4) | instskip(NEXT) | instid1(VALU_DEP_3)
	v_or_b32_e32 v16, 0x1000, v8
	v_lshrrev_b32_e32 v17, v11, v15
	s_delay_alu instid0(VALU_DEP_2) | instskip(NEXT) | instid1(VALU_DEP_2)
	v_lshrrev_b32_e32 v18, v6, v16
	v_lshlrev_b32_e32 v11, v11, v17
	s_delay_alu instid0(VALU_DEP_2) | instskip(NEXT) | instid1(VALU_DEP_2)
	v_lshlrev_b32_e32 v6, v6, v18
	v_cmp_ne_u32_e32 vcc_lo, v11, v15
	v_lshl_or_b32 v15, v10, 12, v4
	s_wait_alu 0xfffd
	v_cndmask_b32_e64 v11, 0, 1, vcc_lo
	v_cmp_ne_u32_e32 vcc_lo, v6, v16
	v_lshl_or_b32 v16, v14, 12, v8
	s_delay_alu instid0(VALU_DEP_3) | instskip(SKIP_3) | instid1(VALU_DEP_2)
	v_or_b32_e32 v11, v17, v11
	s_wait_alu 0xfffd
	v_cndmask_b32_e64 v6, 0, 1, vcc_lo
	v_cmp_gt_i32_e32 vcc_lo, 1, v10
	v_or_b32_e32 v6, v18, v6
	s_wait_alu 0xfffd
	v_cndmask_b32_e32 v11, v15, v11, vcc_lo
	v_cmp_gt_i32_e32 vcc_lo, 1, v14
	s_wait_alu 0xfffd
	s_delay_alu instid0(VALU_DEP_2) | instskip(SKIP_2) | instid1(VALU_DEP_3)
	v_dual_cndmask_b32 v6, v16, v6 :: v_dual_and_b32 v15, 7, v11
	v_cmp_ne_u32_e32 vcc_lo, 0, v4
	v_lshrrev_b32_e32 v11, 2, v11
	v_cmp_eq_u32_e64 s0, 3, v15
	s_delay_alu instid0(VALU_DEP_4)
	v_and_b32_e32 v16, 7, v6
	s_wait_alu 0xfffd
	v_cndmask_b32_e64 v4, 0, 1, vcc_lo
	v_cmp_ne_u32_e32 vcc_lo, 0, v8
	v_lshrrev_b32_e32 v6, 2, v6
	v_cmp_lt_i32_e64 s1, 5, v16
	v_cmp_eq_u32_e64 s2, 3, v16
	s_wait_alu 0xfffd
	v_cndmask_b32_e64 v8, 0, 1, vcc_lo
	v_cmp_lt_i32_e32 vcc_lo, 5, v15
	v_lshl_or_b32 v4, v4, 9, 0x7c00
	s_delay_alu instid0(VALU_DEP_3)
	v_lshl_or_b32 v8, v8, 9, 0x7c00
	s_or_b32 vcc_lo, s0, vcc_lo
	s_wait_alu 0xfffe
	v_add_co_ci_u32_e32 v11, vcc_lo, 0, v11, vcc_lo
	s_or_b32 vcc_lo, s2, s1
	s_wait_alu 0xfffe
	v_add_co_ci_u32_e32 v6, vcc_lo, 0, v6, vcc_lo
	v_cmp_gt_i32_e32 vcc_lo, 31, v10
	s_wait_alu 0xfffd
	v_cndmask_b32_e32 v11, 0x7c00, v11, vcc_lo
	v_cmp_gt_i32_e32 vcc_lo, 31, v14
	s_wait_alu 0xfffd
	v_cndmask_b32_e32 v6, 0x7c00, v6, vcc_lo
	v_cmp_eq_u32_e32 vcc_lo, 0x40f, v10
	s_wait_alu 0xfffd
	v_cndmask_b32_e32 v4, v11, v4, vcc_lo
	v_cmp_eq_u32_e32 vcc_lo, 0x40f, v14
	s_delay_alu instid0(VALU_DEP_2)
	v_and_or_b32 v4, 0x8000, v7, v4
	s_wait_alu 0xfffd
	v_cndmask_b32_e32 v6, v6, v8, vcc_lo
	v_add_co_u32 v0, vcc_lo, v0, s6
	s_wait_alu 0xfffd
	v_add_co_ci_u32_e32 v1, vcc_lo, s7, v1, vcc_lo
	s_delay_alu instid0(VALU_DEP_3) | instskip(SKIP_1) | instid1(VALU_DEP_1)
	v_and_or_b32 v6, 0x8000, v9, v6
	v_and_b32_e32 v4, 0xffff, v4
	v_lshl_or_b32 v4, v6, 16, v4
	v_lshrrev_b32_e32 v6, 16, v5
	global_store_b32 v[0:1], v4, off
	global_load_b32 v4, v[12:13], off offset:640
	v_mad_co_u64_u32 v[0:1], null, 0xa8, s4, v[0:1]
	s_wait_loadcnt 0x0
	v_lshrrev_b32_e32 v7, 16, v4
	s_delay_alu instid0(VALU_DEP_1) | instskip(SKIP_1) | instid1(VALU_DEP_2)
	v_mul_f16_e32 v8, v6, v7
	v_mul_f16_e32 v7, v5, v7
	v_fmac_f16_e32 v8, v5, v4
	s_delay_alu instid0(VALU_DEP_2) | instskip(NEXT) | instid1(VALU_DEP_2)
	v_fma_f16 v4, v4, v6, -v7
	v_cvt_f32_f16_e32 v5, v8
	s_delay_alu instid0(VALU_DEP_2) | instskip(NEXT) | instid1(VALU_DEP_2)
	v_cvt_f32_f16_e32 v6, v4
	v_cvt_f64_f32_e32 v[4:5], v5
	s_delay_alu instid0(VALU_DEP_2) | instskip(NEXT) | instid1(VALU_DEP_2)
	v_cvt_f64_f32_e32 v[6:7], v6
	v_mul_f64_e32 v[4:5], s[8:9], v[4:5]
	s_delay_alu instid0(VALU_DEP_2) | instskip(NEXT) | instid1(VALU_DEP_2)
	v_mul_f64_e32 v[6:7], s[8:9], v[6:7]
	v_and_or_b32 v4, 0x1ff, v5, v4
	s_delay_alu instid0(VALU_DEP_2)
	v_and_or_b32 v6, 0x1ff, v7, v6
	v_lshrrev_b32_e32 v8, 8, v5
	v_bfe_u32 v10, v5, 20, 11
	v_bfe_u32 v11, v7, 20, 11
	v_cmp_ne_u32_e32 vcc_lo, 0, v4
	v_lshrrev_b32_e32 v9, 8, v7
	v_lshrrev_b32_e32 v7, 16, v7
	v_sub_nc_u32_e32 v14, 0x3f1, v10
	v_sub_nc_u32_e32 v15, 0x3f1, v11
	s_wait_alu 0xfffd
	v_cndmask_b32_e64 v4, 0, 1, vcc_lo
	v_cmp_ne_u32_e32 vcc_lo, 0, v6
	v_add_nc_u32_e32 v11, 0xfffffc10, v11
	s_delay_alu instid0(VALU_DEP_3)
	v_and_or_b32 v16, 0xffe, v8, v4
	s_wait_alu 0xfffd
	v_cndmask_b32_e64 v6, 0, 1, vcc_lo
	v_med3_i32 v4, v14, 0, 13
	v_med3_i32 v14, v15, 0, 13
	v_or_b32_e32 v15, 0x1000, v16
	s_delay_alu instid0(VALU_DEP_4) | instskip(SKIP_1) | instid1(VALU_DEP_3)
	v_and_or_b32 v6, 0xffe, v9, v6
	v_mad_co_u64_u32 v[8:9], null, s4, v58, 0
	v_lshrrev_b32_e32 v18, v4, v15
	s_delay_alu instid0(VALU_DEP_3) | instskip(NEXT) | instid1(VALU_DEP_2)
	v_or_b32_e32 v17, 0x1000, v6
	v_lshlrev_b32_e32 v20, v4, v18
	s_delay_alu instid0(VALU_DEP_2) | instskip(SKIP_1) | instid1(VALU_DEP_3)
	v_lshrrev_b32_e32 v19, v14, v17
	v_mov_b32_e32 v4, v9
	v_cmp_ne_u32_e32 vcc_lo, v20, v15
	s_delay_alu instid0(VALU_DEP_3) | instskip(SKIP_3) | instid1(VALU_DEP_3)
	v_lshlrev_b32_e32 v9, v14, v19
	v_add_nc_u32_e32 v14, 0xfffffc10, v10
	s_wait_alu 0xfffd
	v_cndmask_b32_e64 v15, 0, 1, vcc_lo
	v_cmp_ne_u32_e32 vcc_lo, v9, v17
	v_mad_co_u64_u32 v[9:10], null, s5, v58, v[4:5]
	v_lshl_or_b32 v4, v14, 12, v16
	s_delay_alu instid0(VALU_DEP_4)
	v_or_b32_e32 v10, v18, v15
	s_wait_alu 0xfffd
	v_cndmask_b32_e64 v17, 0, 1, vcc_lo
	v_cmp_gt_i32_e32 vcc_lo, 1, v14
	v_lshl_or_b32 v15, v11, 12, v6
	v_lshrrev_b32_e32 v5, 16, v5
	s_delay_alu instid0(VALU_DEP_4)
	v_or_b32_e32 v17, v19, v17
	s_wait_alu 0xfffd
	v_cndmask_b32_e32 v4, v4, v10, vcc_lo
	v_cmp_gt_i32_e32 vcc_lo, 1, v11
	s_wait_alu 0xfffd
	v_cndmask_b32_e32 v10, v15, v17, vcc_lo
	v_cmp_ne_u32_e32 vcc_lo, 0, v16
	v_and_b32_e32 v16, 7, v4
	v_lshrrev_b32_e32 v4, 2, v4
	s_delay_alu instid0(VALU_DEP_4)
	v_and_b32_e32 v17, 7, v10
	s_wait_alu 0xfffd
	v_cndmask_b32_e64 v15, 0, 1, vcc_lo
	v_cmp_ne_u32_e32 vcc_lo, 0, v6
	v_cmp_eq_u32_e64 s0, 3, v16
	v_lshrrev_b32_e32 v10, 2, v10
	v_cmp_lt_i32_e64 s1, 5, v17
	v_cmp_eq_u32_e64 s2, 3, v17
	s_wait_alu 0xfffd
	v_cndmask_b32_e64 v6, 0, 1, vcc_lo
	v_cmp_lt_i32_e32 vcc_lo, 5, v16
	v_lshl_or_b32 v15, v15, 9, 0x7c00
	s_delay_alu instid0(VALU_DEP_3)
	v_lshl_or_b32 v6, v6, 9, 0x7c00
	s_or_b32 vcc_lo, s0, vcc_lo
	s_wait_alu 0xfffe
	v_add_co_ci_u32_e32 v4, vcc_lo, 0, v4, vcc_lo
	s_or_b32 vcc_lo, s2, s1
	s_wait_alu 0xfffe
	v_add_co_ci_u32_e32 v10, vcc_lo, 0, v10, vcc_lo
	v_cmp_gt_i32_e32 vcc_lo, 31, v14
	s_wait_alu 0xfffd
	v_cndmask_b32_e32 v4, 0x7c00, v4, vcc_lo
	v_cmp_gt_i32_e32 vcc_lo, 31, v11
	s_wait_alu 0xfffd
	v_cndmask_b32_e32 v10, 0x7c00, v10, vcc_lo
	v_cmp_eq_u32_e32 vcc_lo, 0x40f, v14
	s_wait_alu 0xfffd
	v_cndmask_b32_e32 v4, v4, v15, vcc_lo
	v_cmp_eq_u32_e32 vcc_lo, 0x40f, v11
	s_wait_alu 0xfffd
	v_cndmask_b32_e32 v6, v10, v6, vcc_lo
	s_delay_alu instid0(VALU_DEP_3) | instskip(SKIP_1) | instid1(VALU_DEP_3)
	v_and_or_b32 v10, 0x8000, v5, v4
	v_lshlrev_b64_e32 v[4:5], 2, v[8:9]
	v_and_or_b32 v6, 0x8000, v7, v6
	s_delay_alu instid0(VALU_DEP_3) | instskip(NEXT) | instid1(VALU_DEP_3)
	v_and_b32_e32 v7, 0xffff, v10
	v_add_co_u32 v2, vcc_lo, v2, v4
	s_wait_alu 0xfffd
	s_delay_alu instid0(VALU_DEP_4) | instskip(NEXT) | instid1(VALU_DEP_3)
	v_add_co_ci_u32_e32 v3, vcc_lo, v3, v5, vcc_lo
	v_lshl_or_b32 v4, v6, 16, v7
	global_store_b32 v[2:3], v4, off
	global_load_b32 v4, v[12:13], off offset:724
	ds_load_2addr_b32 v[2:3], v57 offset0:181 offset1:202
	s_wait_dscnt 0x0
	v_lshrrev_b32_e32 v5, 16, v2
	s_wait_loadcnt 0x0
	v_lshrrev_b32_e32 v6, 16, v4
	s_delay_alu instid0(VALU_DEP_1) | instskip(SKIP_1) | instid1(VALU_DEP_2)
	v_mul_f16_e32 v7, v5, v6
	v_mul_f16_e32 v6, v2, v6
	v_fmac_f16_e32 v7, v2, v4
	s_delay_alu instid0(VALU_DEP_2) | instskip(NEXT) | instid1(VALU_DEP_2)
	v_fma_f16 v2, v4, v5, -v6
	v_cvt_f32_f16_e32 v4, v7
	s_delay_alu instid0(VALU_DEP_2) | instskip(NEXT) | instid1(VALU_DEP_2)
	v_cvt_f32_f16_e32 v2, v2
	v_cvt_f64_f32_e32 v[4:5], v4
	s_delay_alu instid0(VALU_DEP_2) | instskip(NEXT) | instid1(VALU_DEP_2)
	v_cvt_f64_f32_e32 v[6:7], v2
	v_mul_f64_e32 v[4:5], s[8:9], v[4:5]
	s_delay_alu instid0(VALU_DEP_2) | instskip(NEXT) | instid1(VALU_DEP_2)
	v_mul_f64_e32 v[6:7], s[8:9], v[6:7]
	v_and_or_b32 v2, 0x1ff, v5, v4
	s_delay_alu instid0(VALU_DEP_2)
	v_and_or_b32 v6, 0x1ff, v7, v6
	v_lshrrev_b32_e32 v4, 8, v5
	v_bfe_u32 v8, v5, 20, 11
	v_lshrrev_b32_e32 v9, 8, v7
	v_cmp_ne_u32_e32 vcc_lo, 0, v2
	v_bfe_u32 v10, v7, 20, 11
	v_lshrrev_b32_e32 v5, 16, v5
	v_sub_nc_u32_e32 v11, 0x3f1, v8
	v_add_nc_u32_e32 v8, 0xfffffc10, v8
	s_wait_alu 0xfffd
	v_cndmask_b32_e64 v2, 0, 1, vcc_lo
	v_cmp_ne_u32_e32 vcc_lo, 0, v6
	v_lshrrev_b32_e32 v7, 16, v7
	s_delay_alu instid0(VALU_DEP_3) | instskip(SKIP_4) | instid1(VALU_DEP_3)
	v_and_or_b32 v2, 0xffe, v4, v2
	s_wait_alu 0xfffd
	v_cndmask_b32_e64 v6, 0, 1, vcc_lo
	v_sub_nc_u32_e32 v4, 0x3f1, v10
	v_add_nc_u32_e32 v10, 0xfffffc10, v10
	v_and_or_b32 v6, 0xffe, v9, v6
	v_med3_i32 v9, v11, 0, 13
	v_or_b32_e32 v11, 0x1000, v2
	v_med3_i32 v4, v4, 0, 13
	s_delay_alu instid0(VALU_DEP_4) | instskip(NEXT) | instid1(VALU_DEP_3)
	v_or_b32_e32 v14, 0x1000, v6
	v_lshrrev_b32_e32 v15, v9, v11
	s_delay_alu instid0(VALU_DEP_2) | instskip(NEXT) | instid1(VALU_DEP_2)
	v_lshrrev_b32_e32 v16, v4, v14
	v_lshlrev_b32_e32 v9, v9, v15
	s_delay_alu instid0(VALU_DEP_2) | instskip(NEXT) | instid1(VALU_DEP_2)
	v_lshlrev_b32_e32 v4, v4, v16
	v_cmp_ne_u32_e32 vcc_lo, v9, v11
	v_lshl_or_b32 v11, v8, 12, v2
	s_wait_alu 0xfffd
	v_cndmask_b32_e64 v9, 0, 1, vcc_lo
	v_cmp_ne_u32_e32 vcc_lo, v4, v14
	v_lshl_or_b32 v14, v10, 12, v6
	s_delay_alu instid0(VALU_DEP_3) | instskip(SKIP_3) | instid1(VALU_DEP_2)
	v_or_b32_e32 v9, v15, v9
	s_wait_alu 0xfffd
	v_cndmask_b32_e64 v4, 0, 1, vcc_lo
	v_cmp_gt_i32_e32 vcc_lo, 1, v8
	v_or_b32_e32 v4, v16, v4
	s_wait_alu 0xfffd
	v_cndmask_b32_e32 v9, v11, v9, vcc_lo
	v_cmp_gt_i32_e32 vcc_lo, 1, v10
	s_wait_alu 0xfffd
	s_delay_alu instid0(VALU_DEP_2) | instskip(SKIP_2) | instid1(VALU_DEP_3)
	v_dual_cndmask_b32 v4, v14, v4 :: v_dual_and_b32 v11, 7, v9
	v_cmp_ne_u32_e32 vcc_lo, 0, v2
	v_lshrrev_b32_e32 v9, 2, v9
	v_cmp_eq_u32_e64 s0, 3, v11
	s_delay_alu instid0(VALU_DEP_4)
	v_and_b32_e32 v14, 7, v4
	s_wait_alu 0xfffd
	v_cndmask_b32_e64 v2, 0, 1, vcc_lo
	v_cmp_ne_u32_e32 vcc_lo, 0, v6
	v_lshrrev_b32_e32 v4, 2, v4
	v_cmp_lt_i32_e64 s1, 5, v14
	v_cmp_eq_u32_e64 s2, 3, v14
	s_wait_alu 0xfffd
	v_cndmask_b32_e64 v6, 0, 1, vcc_lo
	v_cmp_lt_i32_e32 vcc_lo, 5, v11
	v_lshl_or_b32 v2, v2, 9, 0x7c00
	s_delay_alu instid0(VALU_DEP_3)
	v_lshl_or_b32 v6, v6, 9, 0x7c00
	s_or_b32 vcc_lo, s0, vcc_lo
	s_wait_alu 0xfffe
	v_add_co_ci_u32_e32 v9, vcc_lo, 0, v9, vcc_lo
	s_or_b32 vcc_lo, s2, s1
	s_wait_alu 0xfffe
	v_add_co_ci_u32_e32 v4, vcc_lo, 0, v4, vcc_lo
	v_cmp_gt_i32_e32 vcc_lo, 31, v8
	s_wait_alu 0xfffd
	v_cndmask_b32_e32 v9, 0x7c00, v9, vcc_lo
	v_cmp_gt_i32_e32 vcc_lo, 31, v10
	s_wait_alu 0xfffd
	v_cndmask_b32_e32 v4, 0x7c00, v4, vcc_lo
	v_cmp_eq_u32_e32 vcc_lo, 0x40f, v8
	s_wait_alu 0xfffd
	v_cndmask_b32_e32 v2, v9, v2, vcc_lo
	v_cmp_eq_u32_e32 vcc_lo, 0x40f, v10
	s_delay_alu instid0(VALU_DEP_2) | instskip(SKIP_3) | instid1(VALU_DEP_2)
	v_and_or_b32 v5, 0x8000, v5, v2
	s_wait_alu 0xfffd
	v_cndmask_b32_e32 v4, v4, v6, vcc_lo
	v_mad_co_u64_u32 v[1:2], null, 0xa8, s5, v[1:2]
	v_and_or_b32 v2, 0x8000, v7, v4
	v_and_b32_e32 v4, 0xffff, v5
	s_delay_alu instid0(VALU_DEP_1)
	v_lshl_or_b32 v2, v2, 16, v4
	v_lshrrev_b32_e32 v4, 16, v3
	global_store_b32 v[0:1], v2, off
	global_load_b32 v2, v[12:13], off offset:808
	s_wait_loadcnt 0x0
	v_lshrrev_b32_e32 v5, 16, v2
	s_delay_alu instid0(VALU_DEP_1) | instskip(SKIP_1) | instid1(VALU_DEP_2)
	v_mul_f16_e32 v6, v4, v5
	v_mul_f16_e32 v5, v3, v5
	v_fmac_f16_e32 v6, v3, v2
	s_delay_alu instid0(VALU_DEP_2) | instskip(NEXT) | instid1(VALU_DEP_2)
	v_fma_f16 v2, v2, v4, -v5
	v_cvt_f32_f16_e32 v3, v6
	s_delay_alu instid0(VALU_DEP_2) | instskip(NEXT) | instid1(VALU_DEP_2)
	v_cvt_f32_f16_e32 v4, v2
	v_cvt_f64_f32_e32 v[2:3], v3
	s_delay_alu instid0(VALU_DEP_2) | instskip(NEXT) | instid1(VALU_DEP_2)
	v_cvt_f64_f32_e32 v[4:5], v4
	v_mul_f64_e32 v[2:3], s[8:9], v[2:3]
	s_delay_alu instid0(VALU_DEP_2) | instskip(NEXT) | instid1(VALU_DEP_2)
	v_mul_f64_e32 v[4:5], s[8:9], v[4:5]
	v_and_or_b32 v2, 0x1ff, v3, v2
	s_delay_alu instid0(VALU_DEP_2)
	v_and_or_b32 v4, 0x1ff, v5, v4
	v_lshrrev_b32_e32 v6, 8, v3
	v_bfe_u32 v7, v3, 20, 11
	v_lshrrev_b32_e32 v8, 8, v5
	v_cmp_ne_u32_e32 vcc_lo, 0, v2
	v_bfe_u32 v9, v5, 20, 11
	v_lshrrev_b32_e32 v3, 16, v3
	v_sub_nc_u32_e32 v10, 0x3f1, v7
	v_add_nc_u32_e32 v7, 0xfffffc10, v7
	s_wait_alu 0xfffd
	v_cndmask_b32_e64 v2, 0, 1, vcc_lo
	v_cmp_ne_u32_e32 vcc_lo, 0, v4
	v_lshrrev_b32_e32 v5, 16, v5
	s_delay_alu instid0(VALU_DEP_3) | instskip(SKIP_4) | instid1(VALU_DEP_3)
	v_and_or_b32 v2, 0xffe, v6, v2
	s_wait_alu 0xfffd
	v_cndmask_b32_e64 v4, 0, 1, vcc_lo
	v_sub_nc_u32_e32 v6, 0x3f1, v9
	v_add_nc_u32_e32 v9, 0xfffffc10, v9
	v_and_or_b32 v4, 0xffe, v8, v4
	v_med3_i32 v8, v10, 0, 13
	v_or_b32_e32 v10, 0x1000, v2
	v_med3_i32 v6, v6, 0, 13
	s_delay_alu instid0(VALU_DEP_4) | instskip(NEXT) | instid1(VALU_DEP_3)
	v_or_b32_e32 v11, 0x1000, v4
	v_lshrrev_b32_e32 v14, v8, v10
	s_delay_alu instid0(VALU_DEP_2) | instskip(NEXT) | instid1(VALU_DEP_2)
	v_lshrrev_b32_e32 v15, v6, v11
	v_lshlrev_b32_e32 v8, v8, v14
	s_delay_alu instid0(VALU_DEP_2) | instskip(NEXT) | instid1(VALU_DEP_2)
	v_lshlrev_b32_e32 v6, v6, v15
	v_cmp_ne_u32_e32 vcc_lo, v8, v10
	v_lshl_or_b32 v10, v7, 12, v2
	s_wait_alu 0xfffd
	v_cndmask_b32_e64 v8, 0, 1, vcc_lo
	v_cmp_ne_u32_e32 vcc_lo, v6, v11
	v_lshl_or_b32 v11, v9, 12, v4
	s_delay_alu instid0(VALU_DEP_3) | instskip(SKIP_3) | instid1(VALU_DEP_2)
	v_or_b32_e32 v8, v14, v8
	s_wait_alu 0xfffd
	v_cndmask_b32_e64 v6, 0, 1, vcc_lo
	v_cmp_gt_i32_e32 vcc_lo, 1, v7
	v_or_b32_e32 v6, v15, v6
	s_wait_alu 0xfffd
	v_cndmask_b32_e32 v8, v10, v8, vcc_lo
	v_cmp_gt_i32_e32 vcc_lo, 1, v9
	s_delay_alu instid0(VALU_DEP_2)
	v_and_b32_e32 v10, 7, v8
	s_wait_alu 0xfffd
	v_cndmask_b32_e32 v6, v11, v6, vcc_lo
	v_cmp_ne_u32_e32 vcc_lo, 0, v2
	v_lshrrev_b32_e32 v8, 2, v8
	v_cmp_eq_u32_e64 s0, 3, v10
	s_delay_alu instid0(VALU_DEP_4)
	v_and_b32_e32 v11, 7, v6
	s_wait_alu 0xfffd
	v_cndmask_b32_e64 v2, 0, 1, vcc_lo
	v_cmp_ne_u32_e32 vcc_lo, 0, v4
	v_lshrrev_b32_e32 v6, 2, v6
	v_cmp_lt_i32_e64 s1, 5, v11
	v_cmp_eq_u32_e64 s2, 3, v11
	s_wait_alu 0xfffd
	v_cndmask_b32_e64 v4, 0, 1, vcc_lo
	v_cmp_lt_i32_e32 vcc_lo, 5, v10
	v_lshl_or_b32 v2, v2, 9, 0x7c00
	s_delay_alu instid0(VALU_DEP_3)
	v_lshl_or_b32 v4, v4, 9, 0x7c00
	s_or_b32 vcc_lo, s0, vcc_lo
	s_wait_alu 0xfffe
	v_add_co_ci_u32_e32 v8, vcc_lo, 0, v8, vcc_lo
	s_or_b32 vcc_lo, s2, s1
	s_wait_alu 0xfffe
	v_add_co_ci_u32_e32 v6, vcc_lo, 0, v6, vcc_lo
	v_cmp_gt_i32_e32 vcc_lo, 31, v7
	s_wait_alu 0xfffd
	v_cndmask_b32_e32 v8, 0x7c00, v8, vcc_lo
	v_cmp_gt_i32_e32 vcc_lo, 31, v9
	s_wait_alu 0xfffd
	v_cndmask_b32_e32 v6, 0x7c00, v6, vcc_lo
	v_cmp_eq_u32_e32 vcc_lo, 0x40f, v7
	s_wait_alu 0xfffd
	v_cndmask_b32_e32 v2, v8, v2, vcc_lo
	v_cmp_eq_u32_e32 vcc_lo, 0x40f, v9
	s_delay_alu instid0(VALU_DEP_2)
	v_and_or_b32 v2, 0x8000, v3, v2
	s_wait_alu 0xfffd
	v_cndmask_b32_e32 v4, v6, v4, vcc_lo
	v_add_co_u32 v0, vcc_lo, v0, s6
	s_wait_alu 0xfffd
	v_add_co_ci_u32_e32 v1, vcc_lo, s7, v1, vcc_lo
	s_delay_alu instid0(VALU_DEP_3) | instskip(SKIP_1) | instid1(VALU_DEP_1)
	v_and_or_b32 v3, 0x8000, v5, v4
	v_and_b32_e32 v2, 0xffff, v2
	v_lshl_or_b32 v2, v3, 16, v2
	global_store_b32 v[0:1], v2, off
	global_load_b32 v4, v[12:13], off offset:892
	ds_load_2addr_b32 v[2:3], v57 offset0:223 offset1:244
	s_wait_dscnt 0x0
	v_lshrrev_b32_e32 v5, 16, v2
	s_wait_loadcnt 0x0
	v_lshrrev_b32_e32 v6, 16, v4
	s_delay_alu instid0(VALU_DEP_1) | instskip(SKIP_1) | instid1(VALU_DEP_2)
	v_mul_f16_e32 v7, v5, v6
	v_mul_f16_e32 v6, v2, v6
	v_fmac_f16_e32 v7, v2, v4
	s_delay_alu instid0(VALU_DEP_2) | instskip(NEXT) | instid1(VALU_DEP_2)
	v_fma_f16 v2, v4, v5, -v6
	v_cvt_f32_f16_e32 v4, v7
	s_delay_alu instid0(VALU_DEP_2) | instskip(NEXT) | instid1(VALU_DEP_2)
	v_cvt_f32_f16_e32 v2, v2
	v_cvt_f64_f32_e32 v[4:5], v4
	s_delay_alu instid0(VALU_DEP_2) | instskip(NEXT) | instid1(VALU_DEP_2)
	v_cvt_f64_f32_e32 v[6:7], v2
	v_mul_f64_e32 v[4:5], s[8:9], v[4:5]
	s_delay_alu instid0(VALU_DEP_2) | instskip(NEXT) | instid1(VALU_DEP_2)
	v_mul_f64_e32 v[6:7], s[8:9], v[6:7]
	v_and_or_b32 v2, 0x1ff, v5, v4
	s_delay_alu instid0(VALU_DEP_2)
	v_and_or_b32 v6, 0x1ff, v7, v6
	v_lshrrev_b32_e32 v4, 8, v5
	v_bfe_u32 v8, v5, 20, 11
	v_lshrrev_b32_e32 v9, 8, v7
	v_cmp_ne_u32_e32 vcc_lo, 0, v2
	v_bfe_u32 v10, v7, 20, 11
	v_lshrrev_b32_e32 v5, 16, v5
	v_sub_nc_u32_e32 v11, 0x3f1, v8
	v_add_nc_u32_e32 v8, 0xfffffc10, v8
	s_wait_alu 0xfffd
	v_cndmask_b32_e64 v2, 0, 1, vcc_lo
	v_cmp_ne_u32_e32 vcc_lo, 0, v6
	v_lshrrev_b32_e32 v7, 16, v7
	s_delay_alu instid0(VALU_DEP_3) | instskip(SKIP_4) | instid1(VALU_DEP_3)
	v_and_or_b32 v2, 0xffe, v4, v2
	s_wait_alu 0xfffd
	v_cndmask_b32_e64 v6, 0, 1, vcc_lo
	v_sub_nc_u32_e32 v4, 0x3f1, v10
	v_add_nc_u32_e32 v10, 0xfffffc10, v10
	v_and_or_b32 v6, 0xffe, v9, v6
	v_med3_i32 v9, v11, 0, 13
	v_or_b32_e32 v11, 0x1000, v2
	v_med3_i32 v4, v4, 0, 13
	s_delay_alu instid0(VALU_DEP_4) | instskip(NEXT) | instid1(VALU_DEP_3)
	v_or_b32_e32 v14, 0x1000, v6
	v_lshrrev_b32_e32 v15, v9, v11
	s_delay_alu instid0(VALU_DEP_2) | instskip(NEXT) | instid1(VALU_DEP_2)
	v_lshrrev_b32_e32 v16, v4, v14
	v_lshlrev_b32_e32 v9, v9, v15
	s_delay_alu instid0(VALU_DEP_2) | instskip(NEXT) | instid1(VALU_DEP_2)
	v_lshlrev_b32_e32 v4, v4, v16
	v_cmp_ne_u32_e32 vcc_lo, v9, v11
	v_lshl_or_b32 v11, v8, 12, v2
	s_wait_alu 0xfffd
	v_cndmask_b32_e64 v9, 0, 1, vcc_lo
	v_cmp_ne_u32_e32 vcc_lo, v4, v14
	v_lshl_or_b32 v14, v10, 12, v6
	s_delay_alu instid0(VALU_DEP_3) | instskip(SKIP_3) | instid1(VALU_DEP_2)
	v_or_b32_e32 v9, v15, v9
	s_wait_alu 0xfffd
	v_cndmask_b32_e64 v4, 0, 1, vcc_lo
	v_cmp_gt_i32_e32 vcc_lo, 1, v8
	v_or_b32_e32 v4, v16, v4
	s_wait_alu 0xfffd
	v_cndmask_b32_e32 v9, v11, v9, vcc_lo
	v_cmp_gt_i32_e32 vcc_lo, 1, v10
	s_wait_alu 0xfffd
	s_delay_alu instid0(VALU_DEP_2) | instskip(SKIP_2) | instid1(VALU_DEP_3)
	v_dual_cndmask_b32 v4, v14, v4 :: v_dual_and_b32 v11, 7, v9
	v_cmp_ne_u32_e32 vcc_lo, 0, v2
	v_lshrrev_b32_e32 v9, 2, v9
	v_cmp_eq_u32_e64 s0, 3, v11
	s_delay_alu instid0(VALU_DEP_4)
	v_and_b32_e32 v14, 7, v4
	s_wait_alu 0xfffd
	v_cndmask_b32_e64 v2, 0, 1, vcc_lo
	v_cmp_ne_u32_e32 vcc_lo, 0, v6
	v_lshrrev_b32_e32 v4, 2, v4
	v_cmp_lt_i32_e64 s1, 5, v14
	v_cmp_eq_u32_e64 s2, 3, v14
	s_wait_alu 0xfffd
	v_cndmask_b32_e64 v6, 0, 1, vcc_lo
	v_cmp_lt_i32_e32 vcc_lo, 5, v11
	v_lshl_or_b32 v2, v2, 9, 0x7c00
	s_delay_alu instid0(VALU_DEP_3)
	v_lshl_or_b32 v6, v6, 9, 0x7c00
	s_or_b32 vcc_lo, s0, vcc_lo
	s_wait_alu 0xfffe
	v_add_co_ci_u32_e32 v9, vcc_lo, 0, v9, vcc_lo
	s_or_b32 vcc_lo, s2, s1
	s_wait_alu 0xfffe
	v_add_co_ci_u32_e32 v4, vcc_lo, 0, v4, vcc_lo
	v_cmp_gt_i32_e32 vcc_lo, 31, v8
	s_wait_alu 0xfffd
	v_cndmask_b32_e32 v9, 0x7c00, v9, vcc_lo
	v_cmp_gt_i32_e32 vcc_lo, 31, v10
	s_wait_alu 0xfffd
	v_cndmask_b32_e32 v4, 0x7c00, v4, vcc_lo
	v_cmp_eq_u32_e32 vcc_lo, 0x40f, v8
	s_wait_alu 0xfffd
	v_cndmask_b32_e32 v2, v9, v2, vcc_lo
	v_cmp_eq_u32_e32 vcc_lo, 0x40f, v10
	s_delay_alu instid0(VALU_DEP_2)
	v_and_or_b32 v2, 0x8000, v5, v2
	s_wait_alu 0xfffd
	v_cndmask_b32_e32 v4, v4, v6, vcc_lo
	v_add_co_u32 v0, vcc_lo, v0, s6
	s_wait_alu 0xfffd
	v_add_co_ci_u32_e32 v1, vcc_lo, s7, v1, vcc_lo
	s_delay_alu instid0(VALU_DEP_3) | instskip(SKIP_1) | instid1(VALU_DEP_1)
	v_and_or_b32 v4, 0x8000, v7, v4
	v_and_b32_e32 v2, 0xffff, v2
	v_lshl_or_b32 v2, v4, 16, v2
	v_lshrrev_b32_e32 v4, 16, v3
	global_store_b32 v[0:1], v2, off
	global_load_b32 v2, v[12:13], off offset:976
	s_wait_loadcnt 0x0
	v_lshrrev_b32_e32 v5, 16, v2
	s_delay_alu instid0(VALU_DEP_1) | instskip(SKIP_1) | instid1(VALU_DEP_2)
	v_mul_f16_e32 v6, v4, v5
	v_mul_f16_e32 v5, v3, v5
	v_fmac_f16_e32 v6, v3, v2
	s_delay_alu instid0(VALU_DEP_2) | instskip(NEXT) | instid1(VALU_DEP_2)
	v_fma_f16 v2, v2, v4, -v5
	v_cvt_f32_f16_e32 v3, v6
	s_delay_alu instid0(VALU_DEP_2) | instskip(NEXT) | instid1(VALU_DEP_2)
	v_cvt_f32_f16_e32 v4, v2
	v_cvt_f64_f32_e32 v[2:3], v3
	s_delay_alu instid0(VALU_DEP_2) | instskip(NEXT) | instid1(VALU_DEP_2)
	v_cvt_f64_f32_e32 v[4:5], v4
	v_mul_f64_e32 v[2:3], s[8:9], v[2:3]
	s_delay_alu instid0(VALU_DEP_2) | instskip(NEXT) | instid1(VALU_DEP_2)
	v_mul_f64_e32 v[4:5], s[8:9], v[4:5]
	v_and_or_b32 v2, 0x1ff, v3, v2
	s_delay_alu instid0(VALU_DEP_2)
	v_and_or_b32 v4, 0x1ff, v5, v4
	v_lshrrev_b32_e32 v6, 8, v3
	v_bfe_u32 v7, v3, 20, 11
	v_lshrrev_b32_e32 v8, 8, v5
	v_cmp_ne_u32_e32 vcc_lo, 0, v2
	v_bfe_u32 v9, v5, 20, 11
	v_lshrrev_b32_e32 v3, 16, v3
	v_sub_nc_u32_e32 v10, 0x3f1, v7
	v_add_nc_u32_e32 v7, 0xfffffc10, v7
	s_wait_alu 0xfffd
	v_cndmask_b32_e64 v2, 0, 1, vcc_lo
	v_cmp_ne_u32_e32 vcc_lo, 0, v4
	v_lshrrev_b32_e32 v5, 16, v5
	s_delay_alu instid0(VALU_DEP_3) | instskip(SKIP_4) | instid1(VALU_DEP_3)
	v_and_or_b32 v2, 0xffe, v6, v2
	s_wait_alu 0xfffd
	v_cndmask_b32_e64 v4, 0, 1, vcc_lo
	v_sub_nc_u32_e32 v6, 0x3f1, v9
	v_add_nc_u32_e32 v9, 0xfffffc10, v9
	v_and_or_b32 v4, 0xffe, v8, v4
	v_med3_i32 v8, v10, 0, 13
	v_or_b32_e32 v10, 0x1000, v2
	v_med3_i32 v6, v6, 0, 13
	s_delay_alu instid0(VALU_DEP_4) | instskip(NEXT) | instid1(VALU_DEP_3)
	v_or_b32_e32 v11, 0x1000, v4
	v_lshrrev_b32_e32 v14, v8, v10
	s_delay_alu instid0(VALU_DEP_2) | instskip(NEXT) | instid1(VALU_DEP_2)
	v_lshrrev_b32_e32 v15, v6, v11
	v_lshlrev_b32_e32 v8, v8, v14
	s_delay_alu instid0(VALU_DEP_2) | instskip(NEXT) | instid1(VALU_DEP_2)
	v_lshlrev_b32_e32 v6, v6, v15
	v_cmp_ne_u32_e32 vcc_lo, v8, v10
	v_lshl_or_b32 v10, v7, 12, v2
	s_wait_alu 0xfffd
	v_cndmask_b32_e64 v8, 0, 1, vcc_lo
	v_cmp_ne_u32_e32 vcc_lo, v6, v11
	v_lshl_or_b32 v11, v9, 12, v4
	s_delay_alu instid0(VALU_DEP_3) | instskip(SKIP_3) | instid1(VALU_DEP_2)
	v_or_b32_e32 v8, v14, v8
	s_wait_alu 0xfffd
	v_cndmask_b32_e64 v6, 0, 1, vcc_lo
	v_cmp_gt_i32_e32 vcc_lo, 1, v7
	v_or_b32_e32 v6, v15, v6
	s_wait_alu 0xfffd
	v_cndmask_b32_e32 v8, v10, v8, vcc_lo
	v_cmp_gt_i32_e32 vcc_lo, 1, v9
	s_delay_alu instid0(VALU_DEP_2)
	v_and_b32_e32 v10, 7, v8
	s_wait_alu 0xfffd
	v_cndmask_b32_e32 v6, v11, v6, vcc_lo
	v_cmp_ne_u32_e32 vcc_lo, 0, v2
	v_lshrrev_b32_e32 v8, 2, v8
	v_cmp_eq_u32_e64 s0, 3, v10
	s_delay_alu instid0(VALU_DEP_4)
	v_and_b32_e32 v11, 7, v6
	s_wait_alu 0xfffd
	v_cndmask_b32_e64 v2, 0, 1, vcc_lo
	v_cmp_ne_u32_e32 vcc_lo, 0, v4
	v_lshrrev_b32_e32 v6, 2, v6
	v_cmp_lt_i32_e64 s1, 5, v11
	v_cmp_eq_u32_e64 s2, 3, v11
	s_wait_alu 0xfffd
	v_cndmask_b32_e64 v4, 0, 1, vcc_lo
	v_cmp_lt_i32_e32 vcc_lo, 5, v10
	v_lshl_or_b32 v2, v2, 9, 0x7c00
	s_delay_alu instid0(VALU_DEP_3)
	v_lshl_or_b32 v4, v4, 9, 0x7c00
	s_or_b32 vcc_lo, s0, vcc_lo
	s_wait_alu 0xfffe
	v_add_co_ci_u32_e32 v8, vcc_lo, 0, v8, vcc_lo
	s_or_b32 vcc_lo, s2, s1
	s_wait_alu 0xfffe
	v_add_co_ci_u32_e32 v6, vcc_lo, 0, v6, vcc_lo
	v_cmp_gt_i32_e32 vcc_lo, 31, v7
	s_wait_alu 0xfffd
	v_cndmask_b32_e32 v8, 0x7c00, v8, vcc_lo
	v_cmp_gt_i32_e32 vcc_lo, 31, v9
	s_wait_alu 0xfffd
	v_cndmask_b32_e32 v6, 0x7c00, v6, vcc_lo
	v_cmp_eq_u32_e32 vcc_lo, 0x40f, v7
	s_wait_alu 0xfffd
	v_cndmask_b32_e32 v2, v8, v2, vcc_lo
	v_cmp_eq_u32_e32 vcc_lo, 0x40f, v9
	s_delay_alu instid0(VALU_DEP_2)
	v_and_or_b32 v2, 0x8000, v3, v2
	s_wait_alu 0xfffd
	v_cndmask_b32_e32 v4, v6, v4, vcc_lo
	v_add_co_u32 v0, vcc_lo, v0, s6
	s_wait_alu 0xfffd
	v_add_co_ci_u32_e32 v1, vcc_lo, s7, v1, vcc_lo
	s_delay_alu instid0(VALU_DEP_3) | instskip(SKIP_1) | instid1(VALU_DEP_1)
	v_and_or_b32 v3, 0x8000, v5, v4
	v_and_b32_e32 v2, 0xffff, v2
	v_lshl_or_b32 v2, v3, 16, v2
	ds_load_b32 v3, v57 offset:1060
	global_store_b32 v[0:1], v2, off
	global_load_b32 v2, v[12:13], off offset:1060
	s_wait_dscnt 0x0
	v_lshrrev_b32_e32 v4, 16, v3
	s_wait_loadcnt 0x0
	v_lshrrev_b32_e32 v5, 16, v2
	s_delay_alu instid0(VALU_DEP_1) | instskip(SKIP_1) | instid1(VALU_DEP_2)
	v_mul_f16_e32 v6, v4, v5
	v_mul_f16_e32 v5, v3, v5
	v_fmac_f16_e32 v6, v3, v2
	s_delay_alu instid0(VALU_DEP_2) | instskip(NEXT) | instid1(VALU_DEP_2)
	v_fma_f16 v2, v2, v4, -v5
	v_cvt_f32_f16_e32 v3, v6
	s_delay_alu instid0(VALU_DEP_2) | instskip(NEXT) | instid1(VALU_DEP_2)
	v_cvt_f32_f16_e32 v4, v2
	v_cvt_f64_f32_e32 v[2:3], v3
	s_delay_alu instid0(VALU_DEP_2) | instskip(NEXT) | instid1(VALU_DEP_2)
	v_cvt_f64_f32_e32 v[4:5], v4
	v_mul_f64_e32 v[2:3], s[8:9], v[2:3]
	s_delay_alu instid0(VALU_DEP_2) | instskip(NEXT) | instid1(VALU_DEP_2)
	v_mul_f64_e32 v[4:5], s[8:9], v[4:5]
	v_and_or_b32 v2, 0x1ff, v3, v2
	s_delay_alu instid0(VALU_DEP_2)
	v_and_or_b32 v4, 0x1ff, v5, v4
	v_lshrrev_b32_e32 v6, 8, v3
	v_bfe_u32 v7, v3, 20, 11
	v_lshrrev_b32_e32 v8, 8, v5
	v_cmp_ne_u32_e32 vcc_lo, 0, v2
	v_bfe_u32 v9, v5, 20, 11
	v_lshrrev_b32_e32 v3, 16, v3
	v_sub_nc_u32_e32 v10, 0x3f1, v7
	v_add_nc_u32_e32 v7, 0xfffffc10, v7
	s_wait_alu 0xfffd
	v_cndmask_b32_e64 v2, 0, 1, vcc_lo
	v_cmp_ne_u32_e32 vcc_lo, 0, v4
	v_lshrrev_b32_e32 v5, 16, v5
	s_delay_alu instid0(VALU_DEP_3) | instskip(SKIP_4) | instid1(VALU_DEP_3)
	v_and_or_b32 v2, 0xffe, v6, v2
	s_wait_alu 0xfffd
	v_cndmask_b32_e64 v4, 0, 1, vcc_lo
	v_sub_nc_u32_e32 v6, 0x3f1, v9
	v_add_nc_u32_e32 v9, 0xfffffc10, v9
	v_and_or_b32 v4, 0xffe, v8, v4
	v_med3_i32 v8, v10, 0, 13
	v_or_b32_e32 v10, 0x1000, v2
	v_med3_i32 v6, v6, 0, 13
	s_delay_alu instid0(VALU_DEP_4) | instskip(NEXT) | instid1(VALU_DEP_3)
	v_or_b32_e32 v11, 0x1000, v4
	v_lshrrev_b32_e32 v12, v8, v10
	s_delay_alu instid0(VALU_DEP_2) | instskip(NEXT) | instid1(VALU_DEP_2)
	v_lshrrev_b32_e32 v13, v6, v11
	v_lshlrev_b32_e32 v8, v8, v12
	s_delay_alu instid0(VALU_DEP_2) | instskip(NEXT) | instid1(VALU_DEP_2)
	v_lshlrev_b32_e32 v6, v6, v13
	v_cmp_ne_u32_e32 vcc_lo, v8, v10
	v_lshl_or_b32 v10, v7, 12, v2
	s_wait_alu 0xfffd
	v_cndmask_b32_e64 v8, 0, 1, vcc_lo
	v_cmp_ne_u32_e32 vcc_lo, v6, v11
	v_lshl_or_b32 v11, v9, 12, v4
	s_delay_alu instid0(VALU_DEP_3) | instskip(SKIP_3) | instid1(VALU_DEP_2)
	v_or_b32_e32 v8, v12, v8
	s_wait_alu 0xfffd
	v_cndmask_b32_e64 v6, 0, 1, vcc_lo
	v_cmp_gt_i32_e32 vcc_lo, 1, v7
	v_or_b32_e32 v6, v13, v6
	s_wait_alu 0xfffd
	v_cndmask_b32_e32 v8, v10, v8, vcc_lo
	v_cmp_gt_i32_e32 vcc_lo, 1, v9
	s_delay_alu instid0(VALU_DEP_2)
	v_and_b32_e32 v10, 7, v8
	s_wait_alu 0xfffd
	v_cndmask_b32_e32 v6, v11, v6, vcc_lo
	v_cmp_ne_u32_e32 vcc_lo, 0, v2
	v_lshrrev_b32_e32 v8, 2, v8
	v_cmp_eq_u32_e64 s0, 3, v10
	s_delay_alu instid0(VALU_DEP_4)
	v_and_b32_e32 v11, 7, v6
	s_wait_alu 0xfffd
	v_cndmask_b32_e64 v2, 0, 1, vcc_lo
	v_cmp_ne_u32_e32 vcc_lo, 0, v4
	v_lshrrev_b32_e32 v6, 2, v6
	v_cmp_lt_i32_e64 s1, 5, v11
	v_cmp_eq_u32_e64 s2, 3, v11
	s_wait_alu 0xfffd
	v_cndmask_b32_e64 v4, 0, 1, vcc_lo
	v_cmp_lt_i32_e32 vcc_lo, 5, v10
	v_lshl_or_b32 v2, v2, 9, 0x7c00
	s_delay_alu instid0(VALU_DEP_3)
	v_lshl_or_b32 v4, v4, 9, 0x7c00
	s_or_b32 vcc_lo, s0, vcc_lo
	s_wait_alu 0xfffe
	v_add_co_ci_u32_e32 v8, vcc_lo, 0, v8, vcc_lo
	s_or_b32 vcc_lo, s2, s1
	s_wait_alu 0xfffe
	v_add_co_ci_u32_e32 v6, vcc_lo, 0, v6, vcc_lo
	v_cmp_gt_i32_e32 vcc_lo, 31, v7
	s_wait_alu 0xfffd
	v_cndmask_b32_e32 v8, 0x7c00, v8, vcc_lo
	v_cmp_gt_i32_e32 vcc_lo, 31, v9
	s_wait_alu 0xfffd
	v_cndmask_b32_e32 v6, 0x7c00, v6, vcc_lo
	v_cmp_eq_u32_e32 vcc_lo, 0x40f, v7
	s_wait_alu 0xfffd
	v_cndmask_b32_e32 v2, v8, v2, vcc_lo
	v_cmp_eq_u32_e32 vcc_lo, 0x40f, v9
	s_delay_alu instid0(VALU_DEP_2)
	v_and_or_b32 v2, 0x8000, v3, v2
	s_wait_alu 0xfffd
	v_cndmask_b32_e32 v4, v6, v4, vcc_lo
	v_add_co_u32 v0, vcc_lo, v0, s6
	s_wait_alu 0xfffd
	v_add_co_ci_u32_e32 v1, vcc_lo, s7, v1, vcc_lo
	s_delay_alu instid0(VALU_DEP_3) | instskip(SKIP_1) | instid1(VALU_DEP_1)
	v_and_or_b32 v3, 0x8000, v5, v4
	v_and_b32_e32 v2, 0xffff, v2
	v_lshl_or_b32 v2, v3, 16, v2
	global_store_b32 v[0:1], v2, off
.LBB0_15:
	s_nop 0
	s_sendmsg sendmsg(MSG_DEALLOC_VGPRS)
	s_endpgm
	.section	.rodata,"a",@progbits
	.p2align	6, 0x0
	.amdhsa_kernel bluestein_single_fwd_len273_dim1_half_op_CI_CI
		.amdhsa_group_segment_fixed_size 4368
		.amdhsa_private_segment_fixed_size 0
		.amdhsa_kernarg_size 104
		.amdhsa_user_sgpr_count 2
		.amdhsa_user_sgpr_dispatch_ptr 0
		.amdhsa_user_sgpr_queue_ptr 0
		.amdhsa_user_sgpr_kernarg_segment_ptr 1
		.amdhsa_user_sgpr_dispatch_id 0
		.amdhsa_user_sgpr_private_segment_size 0
		.amdhsa_wavefront_size32 1
		.amdhsa_uses_dynamic_stack 0
		.amdhsa_enable_private_segment 0
		.amdhsa_system_sgpr_workgroup_id_x 1
		.amdhsa_system_sgpr_workgroup_id_y 0
		.amdhsa_system_sgpr_workgroup_id_z 0
		.amdhsa_system_sgpr_workgroup_info 0
		.amdhsa_system_vgpr_workitem_id 0
		.amdhsa_next_free_vgpr 224
		.amdhsa_next_free_sgpr 16
		.amdhsa_reserve_vcc 1
		.amdhsa_float_round_mode_32 0
		.amdhsa_float_round_mode_16_64 0
		.amdhsa_float_denorm_mode_32 3
		.amdhsa_float_denorm_mode_16_64 3
		.amdhsa_fp16_overflow 0
		.amdhsa_workgroup_processor_mode 1
		.amdhsa_memory_ordered 1
		.amdhsa_forward_progress 0
		.amdhsa_round_robin_scheduling 0
		.amdhsa_exception_fp_ieee_invalid_op 0
		.amdhsa_exception_fp_denorm_src 0
		.amdhsa_exception_fp_ieee_div_zero 0
		.amdhsa_exception_fp_ieee_overflow 0
		.amdhsa_exception_fp_ieee_underflow 0
		.amdhsa_exception_fp_ieee_inexact 0
		.amdhsa_exception_int_div_zero 0
	.end_amdhsa_kernel
	.text
.Lfunc_end0:
	.size	bluestein_single_fwd_len273_dim1_half_op_CI_CI, .Lfunc_end0-bluestein_single_fwd_len273_dim1_half_op_CI_CI
                                        ; -- End function
	.section	.AMDGPU.csdata,"",@progbits
; Kernel info:
; codeLenInByte = 47304
; NumSgprs: 18
; NumVgprs: 224
; ScratchSize: 0
; MemoryBound: 0
; FloatMode: 240
; IeeeMode: 1
; LDSByteSize: 4368 bytes/workgroup (compile time only)
; SGPRBlocks: 2
; VGPRBlocks: 27
; NumSGPRsForWavesPerEU: 18
; NumVGPRsForWavesPerEU: 224
; Occupancy: 6
; WaveLimiterHint : 1
; COMPUTE_PGM_RSRC2:SCRATCH_EN: 0
; COMPUTE_PGM_RSRC2:USER_SGPR: 2
; COMPUTE_PGM_RSRC2:TRAP_HANDLER: 0
; COMPUTE_PGM_RSRC2:TGID_X_EN: 1
; COMPUTE_PGM_RSRC2:TGID_Y_EN: 0
; COMPUTE_PGM_RSRC2:TGID_Z_EN: 0
; COMPUTE_PGM_RSRC2:TIDIG_COMP_CNT: 0
	.text
	.p2alignl 7, 3214868480
	.fill 96, 4, 3214868480
	.type	__hip_cuid_8af74eb81a2bbea5,@object ; @__hip_cuid_8af74eb81a2bbea5
	.section	.bss,"aw",@nobits
	.globl	__hip_cuid_8af74eb81a2bbea5
__hip_cuid_8af74eb81a2bbea5:
	.byte	0                               ; 0x0
	.size	__hip_cuid_8af74eb81a2bbea5, 1

	.ident	"AMD clang version 19.0.0git (https://github.com/RadeonOpenCompute/llvm-project roc-6.4.0 25133 c7fe45cf4b819c5991fe208aaa96edf142730f1d)"
	.section	".note.GNU-stack","",@progbits
	.addrsig
	.addrsig_sym __hip_cuid_8af74eb81a2bbea5
	.amdgpu_metadata
---
amdhsa.kernels:
  - .args:
      - .actual_access:  read_only
        .address_space:  global
        .offset:         0
        .size:           8
        .value_kind:     global_buffer
      - .actual_access:  read_only
        .address_space:  global
        .offset:         8
        .size:           8
        .value_kind:     global_buffer
      - .actual_access:  read_only
        .address_space:  global
        .offset:         16
        .size:           8
        .value_kind:     global_buffer
      - .actual_access:  read_only
        .address_space:  global
        .offset:         24
        .size:           8
        .value_kind:     global_buffer
      - .actual_access:  read_only
        .address_space:  global
        .offset:         32
        .size:           8
        .value_kind:     global_buffer
      - .offset:         40
        .size:           8
        .value_kind:     by_value
      - .address_space:  global
        .offset:         48
        .size:           8
        .value_kind:     global_buffer
      - .address_space:  global
        .offset:         56
        .size:           8
        .value_kind:     global_buffer
      - .address_space:  global
        .offset:         64
        .size:           8
        .value_kind:     global_buffer
      - .address_space:  global
        .offset:         72
        .size:           8
        .value_kind:     global_buffer
      - .offset:         80
        .size:           4
        .value_kind:     by_value
      - .address_space:  global
        .offset:         88
        .size:           8
        .value_kind:     global_buffer
      - .address_space:  global
        .offset:         96
        .size:           8
        .value_kind:     global_buffer
    .group_segment_fixed_size: 4368
    .kernarg_segment_align: 8
    .kernarg_segment_size: 104
    .language:       OpenCL C
    .language_version:
      - 2
      - 0
    .max_flat_workgroup_size: 52
    .name:           bluestein_single_fwd_len273_dim1_half_op_CI_CI
    .private_segment_fixed_size: 0
    .sgpr_count:     18
    .sgpr_spill_count: 0
    .symbol:         bluestein_single_fwd_len273_dim1_half_op_CI_CI.kd
    .uniform_work_group_size: 1
    .uses_dynamic_stack: false
    .vgpr_count:     224
    .vgpr_spill_count: 0
    .wavefront_size: 32
    .workgroup_processor_mode: 1
amdhsa.target:   amdgcn-amd-amdhsa--gfx1201
amdhsa.version:
  - 1
  - 2
...

	.end_amdgpu_metadata
